;; amdgpu-corpus repo=ROCm/rocFFT kind=compiled arch=gfx1030 opt=O3
	.text
	.amdgcn_target "amdgcn-amd-amdhsa--gfx1030"
	.amdhsa_code_object_version 6
	.protected	fft_rtc_fwd_len208_factors_13_16_wgs_144_tpt_16_dp_ip_CI_sbcc_twdbase8_3step_dirReg_intrinsicRead ; -- Begin function fft_rtc_fwd_len208_factors_13_16_wgs_144_tpt_16_dp_ip_CI_sbcc_twdbase8_3step_dirReg_intrinsicRead
	.globl	fft_rtc_fwd_len208_factors_13_16_wgs_144_tpt_16_dp_ip_CI_sbcc_twdbase8_3step_dirReg_intrinsicRead
	.p2align	8
	.type	fft_rtc_fwd_len208_factors_13_16_wgs_144_tpt_16_dp_ip_CI_sbcc_twdbase8_3step_dirReg_intrinsicRead,@function
fft_rtc_fwd_len208_factors_13_16_wgs_144_tpt_16_dp_ip_CI_sbcc_twdbase8_3step_dirReg_intrinsicRead: ; @fft_rtc_fwd_len208_factors_13_16_wgs_144_tpt_16_dp_ip_CI_sbcc_twdbase8_3step_dirReg_intrinsicRead
; %bb.0:
	s_load_dwordx4 s[0:3], s[4:5], 0x18
	s_mov_b64 s[22:23], 0
	s_waitcnt lgkmcnt(0)
	s_load_dwordx2 s[18:19], s[0:1], 0x8
	s_waitcnt lgkmcnt(0)
	s_add_u32 s7, s18, -1
	s_addc_u32 s8, s19, -1
	s_add_u32 s9, 0, 0x71c4fc00
	s_addc_u32 s10, 0, 0x7c
	s_mul_hi_u32 s12, s9, -9
	s_add_i32 s10, s10, 0x1c71c6a0
	s_sub_i32 s12, s12, s9
	s_mul_i32 s14, s10, -9
	s_mul_i32 s11, s9, -9
	s_add_i32 s12, s12, s14
	s_mul_hi_u32 s13, s9, s11
	s_mul_i32 s16, s9, s12
	s_mul_hi_u32 s14, s9, s12
	s_mul_hi_u32 s15, s10, s11
	s_mul_i32 s11, s10, s11
	s_add_u32 s13, s13, s16
	s_addc_u32 s14, 0, s14
	s_mul_hi_u32 s17, s10, s12
	s_add_u32 s11, s13, s11
	s_mul_i32 s12, s10, s12
	s_addc_u32 s11, s14, s15
	s_addc_u32 s13, s17, 0
	s_add_u32 s11, s11, s12
	v_add_co_u32 v1, s9, s9, s11
	s_addc_u32 s11, 0, s13
	s_cmp_lg_u32 s9, 0
	s_addc_u32 s9, s10, s11
	v_readfirstlane_b32 s10, v1
	s_mul_i32 s12, s7, s9
	s_mul_hi_u32 s11, s7, s9
	s_mul_hi_u32 s13, s8, s9
	s_mul_i32 s9, s8, s9
	s_mul_hi_u32 s14, s7, s10
	s_mul_hi_u32 s15, s8, s10
	s_mul_i32 s10, s8, s10
	s_add_u32 s12, s14, s12
	s_addc_u32 s11, 0, s11
	s_add_u32 s10, s12, s10
	s_addc_u32 s10, s11, s15
	s_addc_u32 s11, s13, 0
	s_add_u32 s9, s10, s9
	s_addc_u32 s10, 0, s11
	s_mul_i32 s12, s9, 9
	s_add_u32 s11, s9, 1
	v_sub_co_u32 v1, s7, s7, s12
	s_mul_hi_u32 s12, s9, 9
	s_addc_u32 s13, s10, 0
	s_mul_i32 s14, s10, 9
	v_sub_co_u32 v2, s15, v1, 9
	s_add_u32 s16, s9, 2
	s_addc_u32 s17, s10, 0
	s_add_i32 s12, s12, s14
	s_cmp_lg_u32 s7, 0
	v_readfirstlane_b32 s7, v2
	s_subb_u32 s8, s8, s12
	s_cmp_lg_u32 s15, 0
	s_subb_u32 s12, s8, 0
	s_cmp_gt_u32 s7, 8
	s_cselect_b32 s7, -1, 0
	s_cmp_eq_u32 s12, 0
	v_readfirstlane_b32 s12, v1
	s_cselect_b32 s7, s7, -1
	s_cmp_lg_u32 s7, 0
	s_cselect_b32 s11, s16, s11
	s_cselect_b32 s13, s17, s13
	s_cmp_gt_u32 s12, 8
	s_cselect_b32 s7, -1, 0
	s_cmp_eq_u32 s8, 0
	s_cselect_b32 s7, s7, -1
	s_cmp_lg_u32 s7, 0
	s_mov_b32 s7, 0
	s_cselect_b32 s8, s11, s9
	s_cselect_b32 s9, s13, s10
	s_add_u32 s20, s8, 1
	s_addc_u32 s21, s9, 0
	v_cmp_lt_u64_e64 s8, s[6:7], s[20:21]
	s_and_b32 vcc_lo, exec_lo, s8
	s_cbranch_vccnz .LBB0_2
; %bb.1:
	v_cvt_f32_u32_e32 v1, s20
	s_sub_i32 s9, 0, s20
	s_mov_b32 s23, s7
	v_rcp_iflag_f32_e32 v1, v1
	v_mul_f32_e32 v1, 0x4f7ffffe, v1
	v_cvt_u32_f32_e32 v1, v1
	v_readfirstlane_b32 s8, v1
	s_mul_i32 s9, s9, s8
	s_mul_hi_u32 s9, s8, s9
	s_add_i32 s8, s8, s9
	s_mul_hi_u32 s8, s6, s8
	s_mul_i32 s9, s8, s20
	s_add_i32 s10, s8, 1
	s_sub_i32 s9, s6, s9
	s_sub_i32 s11, s9, s20
	s_cmp_ge_u32 s9, s20
	s_cselect_b32 s8, s10, s8
	s_cselect_b32 s9, s11, s9
	s_add_i32 s10, s8, 1
	s_cmp_ge_u32 s9, s20
	s_cselect_b32 s22, s10, s8
.LBB0_2:
	s_load_dwordx4 s[8:11], s[2:3], 0x0
	s_clause 0x2
	s_load_dwordx4 s[12:15], s[4:5], 0x8
	s_load_dwordx2 s[16:17], s[4:5], 0x0
	s_load_dwordx2 s[4:5], s[4:5], 0x58
	s_mul_i32 s24, s22, s21
	s_mul_hi_u32 s25, s22, s20
	s_mul_i32 s26, s22, s20
	s_add_i32 s25, s25, s24
	s_sub_u32 s36, s6, s26
	s_subb_u32 s24, 0, s25
	s_mul_hi_u32 s33, s36, 9
	s_mul_i32 s24, s24, 9
	s_mul_i32 s36, s36, 9
	s_add_i32 s33, s33, s24
	s_waitcnt lgkmcnt(0)
	s_mul_i32 s24, s10, s33
	v_cmp_lt_u64_e64 s26, s[14:15], 3
	s_mul_hi_u32 s25, s10, s36
	s_mul_i32 s38, s10, s36
	s_add_i32 s24, s25, s24
	s_mul_i32 s25, s11, s36
	s_add_i32 s37, s24, s25
	s_and_b32 vcc_lo, exec_lo, s26
	s_cbranch_vccnz .LBB0_12
; %bb.3:
	s_add_u32 s24, s2, 16
	s_addc_u32 s25, s3, 0
	s_add_u32 s0, s0, 16
	s_addc_u32 s1, s1, 0
	s_mov_b64 s[26:27], 2
	s_mov_b32 s28, 0
.LBB0_4:                                ; =>This Inner Loop Header: Depth=1
	s_load_dwordx2 s[30:31], s[0:1], 0x0
	s_waitcnt lgkmcnt(0)
	s_or_b64 s[34:35], s[22:23], s[30:31]
	s_mov_b32 s29, s35
                                        ; implicit-def: $sgpr34_sgpr35
	s_cmp_lg_u64 s[28:29], 0
	s_mov_b32 s29, -1
	s_cbranch_scc0 .LBB0_6
; %bb.5:                                ;   in Loop: Header=BB0_4 Depth=1
	v_cvt_f32_u32_e32 v1, s30
	v_cvt_f32_u32_e32 v2, s31
	s_sub_u32 s35, 0, s30
	s_subb_u32 s39, 0, s31
	v_fmac_f32_e32 v1, 0x4f800000, v2
	v_rcp_f32_e32 v1, v1
	v_mul_f32_e32 v1, 0x5f7ffffc, v1
	v_mul_f32_e32 v2, 0x2f800000, v1
	v_trunc_f32_e32 v2, v2
	v_fmac_f32_e32 v1, 0xcf800000, v2
	v_cvt_u32_f32_e32 v2, v2
	v_cvt_u32_f32_e32 v1, v1
	v_readfirstlane_b32 s29, v2
	v_readfirstlane_b32 s34, v1
	s_mul_i32 s40, s35, s29
	s_mul_hi_u32 s42, s35, s34
	s_mul_i32 s41, s39, s34
	s_add_i32 s40, s42, s40
	s_mul_i32 s43, s35, s34
	s_add_i32 s40, s40, s41
	s_mul_hi_u32 s42, s34, s43
	s_mul_hi_u32 s44, s29, s43
	s_mul_i32 s41, s29, s43
	s_mul_hi_u32 s43, s34, s40
	s_mul_i32 s34, s34, s40
	s_mul_hi_u32 s45, s29, s40
	s_add_u32 s34, s42, s34
	s_addc_u32 s42, 0, s43
	s_add_u32 s34, s34, s41
	s_mul_i32 s40, s29, s40
	s_addc_u32 s34, s42, s44
	s_addc_u32 s41, s45, 0
	s_add_u32 s34, s34, s40
	s_addc_u32 s40, 0, s41
	v_add_co_u32 v1, s34, v1, s34
	s_cmp_lg_u32 s34, 0
	s_addc_u32 s29, s29, s40
	v_readfirstlane_b32 s34, v1
	s_mul_i32 s40, s35, s29
	s_mul_hi_u32 s41, s35, s34
	s_mul_i32 s39, s39, s34
	s_add_i32 s40, s41, s40
	s_mul_i32 s35, s35, s34
	s_add_i32 s40, s40, s39
	s_mul_hi_u32 s41, s29, s35
	s_mul_i32 s42, s29, s35
	s_mul_hi_u32 s35, s34, s35
	s_mul_hi_u32 s43, s34, s40
	s_mul_i32 s34, s34, s40
	s_mul_hi_u32 s39, s29, s40
	s_add_u32 s34, s35, s34
	s_addc_u32 s35, 0, s43
	s_add_u32 s34, s34, s42
	s_mul_i32 s40, s29, s40
	s_addc_u32 s34, s35, s41
	s_addc_u32 s35, s39, 0
	s_add_u32 s34, s34, s40
	s_addc_u32 s35, 0, s35
	v_add_co_u32 v1, s34, v1, s34
	s_cmp_lg_u32 s34, 0
	s_addc_u32 s29, s29, s35
	v_readfirstlane_b32 s34, v1
	s_mul_i32 s39, s22, s29
	s_mul_hi_u32 s35, s22, s29
	s_mul_hi_u32 s40, s23, s29
	s_mul_i32 s29, s23, s29
	s_mul_hi_u32 s41, s22, s34
	s_mul_hi_u32 s42, s23, s34
	s_mul_i32 s34, s23, s34
	s_add_u32 s39, s41, s39
	s_addc_u32 s35, 0, s35
	s_add_u32 s34, s39, s34
	s_addc_u32 s34, s35, s42
	s_addc_u32 s35, s40, 0
	s_add_u32 s34, s34, s29
	s_addc_u32 s35, 0, s35
	s_mul_hi_u32 s29, s30, s34
	s_mul_i32 s40, s30, s35
	s_mul_i32 s41, s30, s34
	s_add_i32 s29, s29, s40
	v_sub_co_u32 v1, s40, s22, s41
	s_mul_i32 s39, s31, s34
	s_add_i32 s29, s29, s39
	v_sub_co_u32 v2, s41, v1, s30
	s_sub_i32 s39, s23, s29
	s_cmp_lg_u32 s40, 0
	s_subb_u32 s39, s39, s31
	s_cmp_lg_u32 s41, 0
	v_readfirstlane_b32 s41, v2
	s_subb_u32 s39, s39, 0
	s_cmp_ge_u32 s39, s31
	s_cselect_b32 s42, -1, 0
	s_cmp_ge_u32 s41, s30
	s_cselect_b32 s41, -1, 0
	s_cmp_eq_u32 s39, s31
	s_cselect_b32 s39, s41, s42
	s_add_u32 s41, s34, 1
	s_addc_u32 s42, s35, 0
	s_add_u32 s43, s34, 2
	s_addc_u32 s44, s35, 0
	s_cmp_lg_u32 s39, 0
	s_cselect_b32 s39, s43, s41
	s_cselect_b32 s41, s44, s42
	s_cmp_lg_u32 s40, 0
	v_readfirstlane_b32 s40, v1
	s_subb_u32 s29, s23, s29
	s_cmp_ge_u32 s29, s31
	s_cselect_b32 s42, -1, 0
	s_cmp_ge_u32 s40, s30
	s_cselect_b32 s40, -1, 0
	s_cmp_eq_u32 s29, s31
	s_cselect_b32 s29, s40, s42
	s_cmp_lg_u32 s29, 0
	s_mov_b32 s29, 0
	s_cselect_b32 s35, s41, s35
	s_cselect_b32 s34, s39, s34
.LBB0_6:                                ;   in Loop: Header=BB0_4 Depth=1
	s_andn2_b32 vcc_lo, exec_lo, s29
	s_cbranch_vccnz .LBB0_8
; %bb.7:                                ;   in Loop: Header=BB0_4 Depth=1
	v_cvt_f32_u32_e32 v1, s30
	s_sub_i32 s34, 0, s30
	v_rcp_iflag_f32_e32 v1, v1
	v_mul_f32_e32 v1, 0x4f7ffffe, v1
	v_cvt_u32_f32_e32 v1, v1
	v_readfirstlane_b32 s29, v1
	s_mul_i32 s34, s34, s29
	s_mul_hi_u32 s34, s29, s34
	s_add_i32 s29, s29, s34
	s_mul_hi_u32 s29, s22, s29
	s_mul_i32 s34, s29, s30
	s_add_i32 s35, s29, 1
	s_sub_i32 s34, s22, s34
	s_sub_i32 s39, s34, s30
	s_cmp_ge_u32 s34, s30
	s_cselect_b32 s29, s35, s29
	s_cselect_b32 s34, s39, s34
	s_add_i32 s35, s29, 1
	s_cmp_ge_u32 s34, s30
	s_cselect_b32 s34, s35, s29
	s_mov_b32 s35, s28
.LBB0_8:                                ;   in Loop: Header=BB0_4 Depth=1
	s_load_dwordx2 s[40:41], s[24:25], 0x0
	s_mul_i32 s21, s30, s21
	s_mul_hi_u32 s29, s30, s20
	s_mul_i32 s39, s31, s20
	s_mul_i32 s31, s34, s31
	s_mul_hi_u32 s42, s34, s30
	s_mul_i32 s43, s35, s30
	s_add_i32 s21, s29, s21
	s_add_i32 s29, s42, s31
	s_mul_i32 s44, s34, s30
	s_add_i32 s21, s21, s39
	s_add_i32 s29, s29, s43
	s_sub_u32 s22, s22, s44
	s_subb_u32 s23, s23, s29
	s_mul_i32 s20, s30, s20
	s_waitcnt lgkmcnt(0)
	s_mul_i32 s23, s40, s23
	s_mul_hi_u32 s29, s40, s22
	s_add_i32 s23, s29, s23
	s_mul_i32 s29, s41, s22
	s_mul_i32 s22, s40, s22
	s_add_i32 s23, s23, s29
	s_add_u32 s38, s22, s38
	s_addc_u32 s37, s23, s37
	s_add_u32 s26, s26, 1
	s_addc_u32 s27, s27, 0
	s_add_u32 s24, s24, 8
	v_cmp_ge_u64_e64 s22, s[26:27], s[14:15]
	s_addc_u32 s25, s25, 0
	s_add_u32 s0, s0, 8
	s_addc_u32 s1, s1, 0
	s_and_b32 vcc_lo, exec_lo, s22
	s_cbranch_vccnz .LBB0_10
; %bb.9:                                ;   in Loop: Header=BB0_4 Depth=1
	s_mov_b64 s[22:23], s[34:35]
	s_branch .LBB0_4
.LBB0_10:
	v_cmp_lt_u64_e64 s0, s[6:7], s[20:21]
	s_mov_b64 s[22:23], 0
	s_and_b32 vcc_lo, exec_lo, s0
	s_cbranch_vccnz .LBB0_12
; %bb.11:
	v_cvt_f32_u32_e32 v1, s20
	s_sub_i32 s1, 0, s20
	v_rcp_iflag_f32_e32 v1, v1
	v_mul_f32_e32 v1, 0x4f7ffffe, v1
	v_cvt_u32_f32_e32 v1, v1
	v_readfirstlane_b32 s0, v1
	s_mul_i32 s1, s1, s0
	s_mul_hi_u32 s1, s0, s1
	s_add_i32 s0, s0, s1
	s_mul_hi_u32 s0, s6, s0
	s_mul_i32 s1, s0, s20
	s_sub_i32 s1, s6, s1
	s_add_i32 s6, s0, 1
	s_sub_i32 s7, s1, s20
	s_cmp_ge_u32 s1, s20
	s_cselect_b32 s0, s6, s0
	s_cselect_b32 s1, s7, s1
	s_add_i32 s6, s0, 1
	s_cmp_ge_u32 s1, s20
	s_cselect_b32 s22, s6, s0
.LBB0_12:
	s_lshl_b64 s[0:1], s[14:15], 3
	v_mul_u32_u24_e32 v1, 0x1c72, v0
	s_add_u32 s0, s2, s0
	s_addc_u32 s1, s3, s1
	s_mov_b32 s7, 0x31014000
	s_load_dwordx2 s[0:1], s[0:1], 0x0
	v_lshrrev_b32_e32 v136, 16, v1
	s_mov_b32 s6, -2
	s_mov_b32 s34, 0x42a4c3d2
	s_mov_b32 s24, 0x2ef20147
	;; [unrolled: 1-line block ×3, first 2 shown]
	v_mul_lo_u16 v1, v136, 9
	v_add_nc_u32_e32 v2, 16, v136
	v_mad_u64_u32 v[125:126], null, s8, v136, 0
	v_or_b32_e32 v9, 32, v136
	v_sub_nc_u16 v1, v0, v1
	v_mul_lo_u32 v2, s8, v2
	v_add_nc_u32_e32 v13, 48, v136
	v_or_b32_e32 v17, 64, v136
	v_mul_lo_u32 v9, s8, v9
	v_and_b32_e32 v113, 0xffff, v1
	v_add_nc_u32_e32 v18, 0x50, v136
	v_mul_lo_u32 v13, s8, v13
	v_mul_lo_u32 v17, s8, v17
	s_waitcnt lgkmcnt(0)
	s_mul_i32 s1, s1, s22
	s_mul_hi_u32 s2, s0, s22
	s_mul_i32 s0, s0, s22
	v_add_co_u32 v129, s3, s36, v113
	s_add_i32 s1, s2, s1
	v_add_co_ci_u32_e64 v130, null, s33, 0, s3
	v_mad_u64_u32 v[127:128], null, s10, v113, 0
	s_add_u32 s2, s0, s38
	s_addc_u32 s3, s1, s37
	s_add_u32 s0, s36, 9
	s_addc_u32 s1, s33, 0
	v_cmp_gt_u64_e32 vcc_lo, s[18:19], v[129:130]
	v_cmp_le_u64_e64 s33, s[0:1], s[18:19]
	v_add_lshl_u32 v1, v127, v125, 4
	v_add_lshl_u32 v2, v127, v2, 4
	s_lshl_b32 s1, s2, 4
	v_add_lshl_u32 v9, v127, v9, 4
	v_add_lshl_u32 v13, v127, v13, 4
	s_or_b32 s0, s33, vcc_lo
	v_add_lshl_u32 v17, v127, v17, 4
	v_cndmask_b32_e64 v1, -1, v1, s0
	v_cndmask_b32_e64 v2, -1, v2, s0
	s_clause 0x1
	buffer_load_dwordx4 v[5:8], v1, s[4:7], s1 offen
	buffer_load_dwordx4 v[1:4], v2, s[4:7], s1 offen
	v_cndmask_b32_e64 v9, -1, v9, s0
	v_cndmask_b32_e64 v13, -1, v13, s0
	v_cndmask_b32_e64 v17, -1, v17, s0
	v_or_b32_e32 v45, 0xa0, v136
	s_mov_b32 s38, 0x66966769
	s_clause 0x2
	buffer_load_dwordx4 v[9:12], v9, s[4:7], s1 offen
	buffer_load_dwordx4 v[13:16], v13, s[4:7], s1 offen
	;; [unrolled: 1-line block ×3, first 2 shown]
	v_mul_lo_u32 v17, s8, v18
	v_or_b32_e32 v18, 0x60, v136
	v_mul_lo_u32 v45, s8, v45
	s_mov_b32 s36, 0x4bc48dbf
	s_mov_b32 s29, 0xbfddbe06
	;; [unrolled: 1-line block ×5, first 2 shown]
	v_add_lshl_u32 v17, v127, v17, 4
	s_mov_b32 s25, 0xbfedeba7
	s_mov_b32 s27, 0xbfe5384d
	;; [unrolled: 1-line block ×4, first 2 shown]
	v_cndmask_b32_e64 v17, -1, v17, s0
	s_mov_b32 s18, 0xb2365da1
	s_mov_b32 s14, 0xd0032e0c
	;; [unrolled: 1-line block ×4, first 2 shown]
	buffer_load_dwordx4 v[25:28], v17, s[4:7], s1 offen
	v_mul_lo_u32 v17, s8, v18
	v_add_nc_u32_e32 v18, 0x70, v136
	s_mov_b32 s19, 0xbfd6b1d8
	s_mov_b32 s15, 0xbfe7f3cc
	;; [unrolled: 1-line block ×6, first 2 shown]
	v_add_lshl_u32 v17, v127, v17, 4
	s_mov_b32 s30, s38
	s_mov_b32 s43, 0x3fedeba7
	s_mov_b32 s42, s24
	v_cndmask_b32_e64 v17, -1, v17, s0
	buffer_load_dwordx4 v[29:32], v17, s[4:7], s1 offen
	v_mul_lo_u32 v17, s8, v18
	v_or_b32_e32 v18, 0x80, v136
	v_add_lshl_u32 v17, v127, v17, 4
	v_cndmask_b32_e64 v17, -1, v17, s0
	buffer_load_dwordx4 v[33:36], v17, s[4:7], s1 offen
	v_mul_lo_u32 v17, s8, v18
	v_add_nc_u32_e32 v18, 0x90, v136
	v_mul_lo_u32 v18, s8, v18
	v_add_lshl_u32 v17, v127, v17, 4
	v_cndmask_b32_e64 v17, -1, v17, s0
	buffer_load_dwordx4 v[37:40], v17, s[4:7], s1 offen
	v_add_lshl_u32 v17, v127, v18, 4
	v_cndmask_b32_e64 v17, -1, v17, s0
	buffer_load_dwordx4 v[17:20], v17, s[4:7], s1 offen
	s_waitcnt vmcnt(8)
	v_add_f64 v[41:42], v[5:6], v[1:2]
	v_add_f64 v[43:44], v[7:8], v[3:4]
	s_waitcnt vmcnt(7)
	v_add_f64 v[41:42], v[41:42], v[9:10]
	v_add_f64 v[43:44], v[43:44], v[11:12]
	;; [unrolled: 3-line block ×4, first 2 shown]
	v_add_f64 v[43:44], v[43:44], v[23:24]
	v_add_f64 v[49:50], v[31:32], v[35:36]
	s_waitcnt vmcnt(1)
	v_add_f64 v[55:56], v[25:26], v[37:38]
	v_add_f64 v[53:54], v[27:28], v[39:40]
	v_add_f64 v[47:48], v[27:28], -v[39:40]
	v_add_f64 v[41:42], v[41:42], v[25:26]
	v_add_f64 v[43:44], v[43:44], v[27:28]
	s_waitcnt vmcnt(0)
	v_add_f64 v[57:58], v[21:22], v[17:18]
	v_add_f64 v[61:62], v[21:22], -v[17:18]
	v_add_nc_u32_e32 v21, 0xb0, v136
	v_add_f64 v[59:60], v[23:24], v[19:20]
	v_add_f64 v[63:64], v[23:24], -v[19:20]
	v_mul_lo_u32 v21, s8, v21
	v_add_f64 v[41:42], v[41:42], v[29:30]
	v_add_f64 v[43:44], v[43:44], v[31:32]
	v_add_lshl_u32 v21, v127, v21, 4
	v_cndmask_b32_e64 v21, -1, v21, s0
	v_mul_f64 v[107:108], v[61:62], s[40:41]
	v_mul_f64 v[105:106], v[63:64], s[40:41]
	buffer_load_dwordx4 v[21:24], v21, s[4:7], s1 offen
	v_add_f64 v[41:42], v[41:42], v[33:34]
	v_add_f64 v[43:44], v[43:44], v[35:36]
	;; [unrolled: 1-line block ×4, first 2 shown]
	v_add_lshl_u32 v41, v127, v45, 4
	v_add_f64 v[43:44], v[29:30], -v[33:34]
	v_add_f64 v[45:46], v[31:32], -v[35:36]
	v_cndmask_b32_e64 v69, -1, v41, s0
	v_add_f64 v[41:42], v[25:26], -v[37:38]
	v_add_f64 v[25:26], v[65:66], v[17:18]
	v_add_f64 v[27:28], v[67:68], v[19:20]
	buffer_load_dwordx4 v[17:20], v69, s[4:7], s1 offen
	s_waitcnt vmcnt(1)
	v_add_f64 v[69:70], v[9:10], v[21:22]
	v_add_f64 v[89:90], v[9:10], -v[21:22]
	v_or_b32_e32 v9, 0xc0, v136
	v_add_f64 v[71:72], v[11:12], v[23:24]
	v_add_f64 v[91:92], v[11:12], -v[23:24]
	v_mul_lo_u32 v9, s8, v9
	v_add_lshl_u32 v9, v127, v9, 4
	v_cndmask_b32_e64 v9, -1, v9, s0
	buffer_load_dwordx4 v[9:12], v9, s[4:7], s1 offen
	s_mov_b32 s0, 0xe00740e9
	s_mov_b32 s6, 0xebaa3ed8
	;; [unrolled: 1-line block ×4, first 2 shown]
	s_waitcnt vmcnt(1)
	v_add_f64 v[65:66], v[13:14], v[17:18]
	v_add_f64 v[67:68], v[15:16], v[19:20]
	v_add_f64 v[79:80], v[13:14], -v[17:18]
	v_add_f64 v[83:84], v[15:16], -v[19:20]
	v_add_f64 v[13:14], v[25:26], v[17:18]
	v_add_f64 v[15:16], v[27:28], v[19:20]
	;; [unrolled: 1-line block ×4, first 2 shown]
	s_waitcnt vmcnt(0)
	v_add_f64 v[17:18], v[3:4], -v[11:12]
	v_add_f64 v[19:20], v[1:2], v[9:10]
	v_add_f64 v[21:22], v[3:4], v[11:12]
	v_add_f64 v[23:24], v[1:2], -v[9:10]
	v_add_f64 v[1:2], v[13:14], v[9:10]
	v_add_f64 v[3:4], v[15:16], v[11:12]
	v_mul_f64 v[9:10], v[17:18], s[28:29]
	v_mul_f64 v[11:12], v[17:18], s[34:35]
	;; [unrolled: 1-line block ×10, first 2 shown]
	v_fma_f64 v[27:28], v[19:20], s[0:1], -v[9:10]
	v_fma_f64 v[9:10], v[19:20], s[0:1], v[9:10]
	v_fma_f64 v[29:30], v[19:20], s[22:23], -v[11:12]
	v_fma_f64 v[11:12], v[19:20], s[22:23], v[11:12]
	;; [unrolled: 2-line block ×6, first 2 shown]
	v_mul_f64 v[19:20], v[23:24], s[28:29]
	v_mul_f64 v[23:24], v[23:24], s[36:37]
	v_fma_f64 v[85:86], v[21:22], s[22:23], v[39:40]
	v_fma_f64 v[39:40], v[21:22], s[22:23], -v[39:40]
	v_fma_f64 v[87:88], v[21:22], s[6:7], v[73:74]
	v_fma_f64 v[93:94], v[21:22], s[6:7], -v[73:74]
	;; [unrolled: 2-line block ×4, first 2 shown]
	s_mov_b32 s29, 0x3fddbe06
	v_add_f64 v[29:30], v[5:6], v[29:30]
	v_add_f64 v[73:74], v[5:6], v[11:12]
	;; [unrolled: 1-line block ×9, first 2 shown]
	v_mul_f64 v[15:16], v[89:90], s[34:35]
	v_fma_f64 v[81:82], v[21:22], s[0:1], v[19:20]
	v_fma_f64 v[19:20], v[21:22], s[0:1], -v[19:20]
	v_fma_f64 v[101:102], v[21:22], s[20:21], v[23:24]
	v_fma_f64 v[21:22], v[21:22], s[20:21], -v[23:24]
	v_add_f64 v[23:24], v[5:6], v[27:28]
	v_add_f64 v[75:76], v[7:8], v[39:40]
	;; [unrolled: 1-line block ×10, first 2 shown]
	v_mul_f64 v[17:18], v[83:84], s[38:39]
	v_mul_f64 v[25:26], v[61:62], s[24:25]
	;; [unrolled: 1-line block ×7, first 2 shown]
	v_add_f64 v[27:28], v[7:8], v[81:82]
	v_add_f64 v[81:82], v[5:6], v[9:10]
	v_mul_f64 v[5:6], v[91:92], s[34:35]
	v_add_f64 v[19:20], v[7:8], v[19:20]
	v_add_f64 v[109:110], v[7:8], v[101:102]
	;; [unrolled: 1-line block ×3, first 2 shown]
	v_fma_f64 v[9:10], v[71:72], s[22:23], v[15:16]
	v_mul_f64 v[21:22], v[79:80], s[38:39]
	v_fma_f64 v[15:16], v[71:72], s[22:23], -v[15:16]
	v_mul_f64 v[101:102], v[41:42], s[30:31]
	v_fma_f64 v[11:12], v[65:66], s[6:7], -v[17:18]
	v_fma_f64 v[17:18], v[65:66], s[6:7], v[17:18]
	v_fma_f64 v[7:8], v[69:70], s[22:23], -v[5:6]
	v_fma_f64 v[5:6], v[69:70], s[22:23], v[5:6]
	v_add_f64 v[9:10], v[9:10], v[27:28]
	v_mul_f64 v[27:28], v[47:48], s[26:27]
	v_add_f64 v[15:16], v[15:16], v[19:20]
	v_fma_f64 v[19:20], v[65:66], s[20:21], -v[97:98]
	v_add_f64 v[7:8], v[7:8], v[23:24]
	v_mul_f64 v[23:24], v[63:64], s[24:25]
	v_add_f64 v[5:6], v[5:6], v[81:82]
	v_mul_f64 v[81:82], v[45:46], s[28:29]
	v_add_f64 v[7:8], v[11:12], v[7:8]
	v_fma_f64 v[11:12], v[67:68], s[6:7], v[21:22]
	v_add_f64 v[5:6], v[17:18], v[5:6]
	v_fma_f64 v[17:18], v[67:68], s[6:7], -v[21:22]
	v_add_f64 v[9:10], v[11:12], v[9:10]
	v_fma_f64 v[11:12], v[57:58], s[18:19], -v[23:24]
	v_add_f64 v[15:16], v[17:18], v[15:16]
	v_fma_f64 v[17:18], v[57:58], s[18:19], v[23:24]
	v_add_f64 v[7:8], v[11:12], v[7:8]
	v_fma_f64 v[11:12], v[59:60], s[18:19], v[25:26]
	v_add_f64 v[5:6], v[17:18], v[5:6]
	v_fma_f64 v[17:18], v[59:60], s[18:19], -v[25:26]
	v_mul_f64 v[25:26], v[89:90], s[36:37]
	v_add_f64 v[9:10], v[11:12], v[9:10]
	v_fma_f64 v[11:12], v[55:56], s[14:15], -v[27:28]
	v_add_f64 v[15:16], v[17:18], v[15:16]
	v_fma_f64 v[17:18], v[55:56], s[14:15], v[27:28]
	v_mul_f64 v[27:28], v[83:84], s[42:43]
	v_fma_f64 v[23:24], v[71:72], s[20:21], v[25:26]
	v_add_f64 v[7:8], v[11:12], v[7:8]
	v_fma_f64 v[11:12], v[53:54], s[14:15], v[37:38]
	v_add_f64 v[5:6], v[17:18], v[5:6]
	v_fma_f64 v[17:18], v[53:54], s[14:15], -v[37:38]
	v_add_f64 v[23:24], v[23:24], v[39:40]
	v_add_f64 v[11:12], v[11:12], v[9:10]
	v_fma_f64 v[9:10], v[51:52], s[20:21], -v[77:78]
	v_add_f64 v[15:16], v[17:18], v[15:16]
	v_fma_f64 v[17:18], v[51:52], s[20:21], v[77:78]
	v_mul_f64 v[77:78], v[43:44], s[28:29]
	v_add_f64 v[9:10], v[9:10], v[7:8]
	v_mul_f64 v[7:8], v[43:44], s[36:37]
	v_add_f64 v[5:6], v[17:18], v[5:6]
	v_fma_f64 v[17:18], v[71:72], s[18:19], v[95:96]
	v_fma_f64 v[93:94], v[49:50], s[20:21], v[7:8]
	v_fma_f64 v[7:8], v[49:50], s[20:21], -v[7:8]
	v_add_f64 v[17:18], v[17:18], v[103:104]
	v_mul_f64 v[103:104], v[47:48], s[30:31]
	v_add_f64 v[11:12], v[93:94], v[11:12]
	v_mul_f64 v[93:94], v[91:92], s[24:25]
	v_add_f64 v[7:8], v[7:8], v[15:16]
	v_fma_f64 v[15:16], v[69:70], s[18:19], -v[93:94]
	v_add_f64 v[15:16], v[15:16], v[29:30]
	v_fma_f64 v[29:30], v[65:66], s[18:19], -v[27:28]
	v_add_f64 v[15:16], v[19:20], v[15:16]
	v_fma_f64 v[19:20], v[67:68], s[20:21], v[99:100]
	v_add_f64 v[17:18], v[19:20], v[17:18]
	v_fma_f64 v[19:20], v[57:58], s[14:15], -v[105:106]
	v_add_f64 v[15:16], v[19:20], v[15:16]
	v_fma_f64 v[19:20], v[59:60], s[14:15], v[107:108]
	;; [unrolled: 4-line block ×4, first 2 shown]
	v_add_f64 v[19:20], v[15:16], v[19:20]
	v_mul_f64 v[15:16], v[91:92], s[36:37]
	s_mov_b32 s37, 0x3fea55e2
	v_fma_f64 v[21:22], v[69:70], s[20:21], -v[15:16]
	v_fma_f64 v[15:16], v[69:70], s[20:21], v[15:16]
	v_add_f64 v[21:22], v[21:22], v[31:32]
	v_add_f64 v[13:14], v[15:16], v[13:14]
	v_fma_f64 v[15:16], v[71:72], s[20:21], -v[25:26]
	v_fma_f64 v[25:26], v[65:66], s[18:19], v[27:28]
	v_add_f64 v[21:22], v[29:30], v[21:22]
	v_mul_f64 v[29:30], v[79:80], s[42:43]
	v_add_f64 v[15:16], v[15:16], v[114:115]
	v_add_f64 v[13:14], v[25:26], v[13:14]
	v_mul_f64 v[114:115], v[79:80], s[28:29]
	v_fma_f64 v[31:32], v[67:68], s[18:19], v[29:30]
	v_fma_f64 v[25:26], v[67:68], s[18:19], -v[29:30]
	v_add_f64 v[23:24], v[31:32], v[23:24]
	v_mul_f64 v[31:32], v[63:64], s[28:29]
	v_add_f64 v[15:16], v[25:26], v[15:16]
	v_fma_f64 v[37:38], v[57:58], s[0:1], -v[31:32]
	v_fma_f64 v[25:26], v[57:58], s[0:1], v[31:32]
	v_add_f64 v[21:22], v[37:38], v[21:22]
	v_mul_f64 v[37:38], v[61:62], s[28:29]
	v_add_f64 v[13:14], v[25:26], v[13:14]
	v_fma_f64 v[39:40], v[59:60], s[0:1], v[37:38]
	v_fma_f64 v[25:26], v[59:60], s[0:1], -v[37:38]
	v_mul_f64 v[37:38], v[89:90], s[40:41]
	v_add_f64 v[23:24], v[39:40], v[23:24]
	v_mul_f64 v[39:40], v[47:48], s[34:35]
	v_add_f64 v[15:16], v[25:26], v[15:16]
	v_fma_f64 v[29:30], v[71:72], s[14:15], v[37:38]
	v_fma_f64 v[37:38], v[71:72], s[14:15], -v[37:38]
	v_fma_f64 v[134:135], v[55:56], s[22:23], -v[39:40]
	v_fma_f64 v[25:26], v[55:56], s[22:23], v[39:40]
	v_mul_f64 v[39:40], v[83:84], s[28:29]
	v_add_f64 v[29:30], v[29:30], v[118:119]
	v_mul_f64 v[118:119], v[61:62], s[38:39]
	v_add_f64 v[37:38], v[37:38], v[122:123]
	v_add_f64 v[21:22], v[134:135], v[21:22]
	v_mul_f64 v[134:135], v[41:42], s[34:35]
	v_add_f64 v[13:14], v[25:26], v[13:14]
	v_fma_f64 v[31:32], v[65:66], s[0:1], -v[39:40]
	v_fma_f64 v[39:40], v[65:66], s[0:1], v[39:40]
	v_fma_f64 v[137:138], v[53:54], s[22:23], v[134:135]
	v_fma_f64 v[25:26], v[53:54], s[22:23], -v[134:135]
	v_add_f64 v[23:24], v[137:138], v[23:24]
	v_mul_f64 v[137:138], v[45:46], s[26:27]
	v_add_f64 v[15:16], v[25:26], v[15:16]
	v_fma_f64 v[139:140], v[51:52], s[14:15], -v[137:138]
	v_fma_f64 v[25:26], v[51:52], s[14:15], v[137:138]
	v_add_f64 v[21:22], v[139:140], v[21:22]
	v_mul_f64 v[139:140], v[43:44], s[26:27]
	v_add_f64 v[13:14], v[25:26], v[13:14]
	v_mul_f64 v[25:26], v[91:92], s[40:41]
	v_fma_f64 v[27:28], v[49:50], s[14:15], -v[139:140]
	v_fma_f64 v[141:142], v[49:50], s[14:15], v[139:140]
	v_add_f64 v[15:16], v[27:28], v[15:16]
	v_fma_f64 v[27:28], v[69:70], s[14:15], -v[25:26]
	v_fma_f64 v[25:26], v[69:70], s[14:15], v[25:26]
	v_add_f64 v[23:24], v[141:142], v[23:24]
	v_add_f64 v[27:28], v[27:28], v[116:117]
	v_mul_f64 v[116:117], v[63:64], s[38:39]
	v_add_f64 v[25:26], v[25:26], v[120:121]
	s_mov_b32 s39, 0x3fcea1e5
	s_mov_b32 s38, s36
	;; [unrolled: 1-line block ×3, first 2 shown]
	v_mul_f64 v[134:135], v[47:48], s[38:39]
	v_mul_f64 v[137:138], v[41:42], s[38:39]
	;; [unrolled: 1-line block ×3, first 2 shown]
	v_add_f64 v[27:28], v[31:32], v[27:28]
	v_fma_f64 v[31:32], v[67:68], s[0:1], v[114:115]
	v_add_f64 v[25:26], v[39:40], v[25:26]
	v_fma_f64 v[39:40], v[67:68], s[0:1], -v[114:115]
	v_mul_f64 v[114:115], v[91:92], s[30:31]
	v_mul_f64 v[91:92], v[91:92], s[28:29]
	v_add_f64 v[29:30], v[31:32], v[29:30]
	v_fma_f64 v[31:32], v[57:58], s[6:7], -v[116:117]
	v_add_f64 v[37:38], v[39:40], v[37:38]
	v_fma_f64 v[39:40], v[57:58], s[6:7], v[116:117]
	v_mul_f64 v[116:117], v[89:90], s[30:31]
	v_mul_f64 v[89:90], v[89:90], s[28:29]
	v_add_f64 v[27:28], v[31:32], v[27:28]
	v_fma_f64 v[31:32], v[59:60], s[6:7], v[118:119]
	v_add_f64 v[25:26], v[39:40], v[25:26]
	v_fma_f64 v[39:40], v[59:60], s[6:7], -v[118:119]
	v_mul_f64 v[118:119], v[83:84], s[34:35]
	v_mul_f64 v[83:84], v[83:84], s[26:27]
	v_add_f64 v[29:30], v[31:32], v[29:30]
	v_fma_f64 v[31:32], v[55:56], s[20:21], -v[134:135]
	v_add_f64 v[37:38], v[39:40], v[37:38]
	v_fma_f64 v[39:40], v[55:56], s[20:21], v[134:135]
	v_fma_f64 v[120:121], v[65:66], s[22:23], -v[118:119]
	v_add_f64 v[27:28], v[31:32], v[27:28]
	v_fma_f64 v[31:32], v[53:54], s[20:21], v[137:138]
	v_add_f64 v[25:26], v[39:40], v[25:26]
	v_fma_f64 v[39:40], v[53:54], s[20:21], -v[137:138]
	v_add_f64 v[31:32], v[31:32], v[29:30]
	v_fma_f64 v[29:30], v[51:52], s[22:23], -v[139:140]
	v_add_f64 v[37:38], v[39:40], v[37:38]
	v_fma_f64 v[39:40], v[51:52], s[22:23], v[139:140]
	v_add_f64 v[29:30], v[29:30], v[27:28]
	v_mul_f64 v[27:28], v[43:44], s[36:37]
	v_add_f64 v[25:26], v[39:40], v[25:26]
	v_fma_f64 v[39:40], v[71:72], s[6:7], v[116:117]
	v_fma_f64 v[141:142], v[49:50], s[22:23], v[27:28]
	v_fma_f64 v[27:28], v[49:50], s[22:23], -v[27:28]
	v_add_f64 v[39:40], v[39:40], v[132:133]
	v_add_f64 v[31:32], v[141:142], v[31:32]
	;; [unrolled: 1-line block ×3, first 2 shown]
	v_fma_f64 v[37:38], v[69:70], s[6:7], -v[114:115]
	v_fma_f64 v[114:115], v[69:70], s[6:7], v[114:115]
	v_add_f64 v[37:38], v[37:38], v[130:131]
	v_add_f64 v[35:36], v[114:115], v[35:36]
	v_fma_f64 v[114:115], v[71:72], s[6:7], -v[116:117]
	v_add_f64 v[37:38], v[120:121], v[37:38]
	v_mul_f64 v[120:121], v[79:80], s[34:35]
	v_add_f64 v[33:34], v[114:115], v[33:34]
	v_fma_f64 v[114:115], v[65:66], s[22:23], v[118:119]
	v_mul_f64 v[79:80], v[79:80], s[26:27]
	v_fma_f64 v[122:123], v[67:68], s[22:23], v[120:121]
	v_add_f64 v[35:36], v[114:115], v[35:36]
	v_fma_f64 v[114:115], v[67:68], s[22:23], -v[120:121]
	v_add_f64 v[39:40], v[122:123], v[39:40]
	v_mul_f64 v[122:123], v[63:64], s[38:39]
	v_mul_f64 v[63:64], v[63:64], s[36:37]
	v_add_f64 v[33:34], v[114:115], v[33:34]
	v_fma_f64 v[130:131], v[57:58], s[20:21], -v[122:123]
	v_fma_f64 v[114:115], v[57:58], s[20:21], v[122:123]
	v_add_f64 v[37:38], v[130:131], v[37:38]
	v_mul_f64 v[130:131], v[61:62], s[38:39]
	v_add_f64 v[35:36], v[114:115], v[35:36]
	v_mul_f64 v[61:62], v[61:62], s[36:37]
	v_fma_f64 v[132:133], v[59:60], s[20:21], v[130:131]
	v_fma_f64 v[114:115], v[59:60], s[20:21], -v[130:131]
	v_add_f64 v[39:40], v[132:133], v[39:40]
	v_mul_f64 v[132:133], v[47:48], s[28:29]
	v_add_f64 v[33:34], v[114:115], v[33:34]
	v_mul_f64 v[47:48], v[47:48], s[24:25]
	v_fma_f64 v[134:135], v[55:56], s[0:1], -v[132:133]
	v_fma_f64 v[114:115], v[55:56], s[0:1], v[132:133]
	v_add_f64 v[37:38], v[134:135], v[37:38]
	v_mul_f64 v[134:135], v[41:42], s[28:29]
	v_add_f64 v[35:36], v[114:115], v[35:36]
	v_fma_f64 v[137:138], v[53:54], s[0:1], v[134:135]
	v_fma_f64 v[114:115], v[53:54], s[0:1], -v[134:135]
	v_add_f64 v[39:40], v[137:138], v[39:40]
	v_mul_f64 v[137:138], v[45:46], s[24:25]
	v_add_f64 v[114:115], v[114:115], v[33:34]
	v_mul_f64 v[45:46], v[45:46], s[30:31]
	v_fma_f64 v[139:140], v[51:52], s[18:19], -v[137:138]
	v_fma_f64 v[33:34], v[51:52], s[18:19], v[137:138]
	v_add_f64 v[37:38], v[139:140], v[37:38]
	v_mul_f64 v[139:140], v[43:44], s[24:25]
	v_add_f64 v[33:34], v[33:34], v[35:36]
	v_fma_f64 v[116:117], v[49:50], s[18:19], -v[139:140]
	v_fma_f64 v[141:142], v[49:50], s[18:19], v[139:140]
	v_add_f64 v[35:36], v[116:117], v[114:115]
	v_fma_f64 v[114:115], v[69:70], s[0:1], -v[91:92]
	v_fma_f64 v[91:92], v[69:70], s[0:1], v[91:92]
	v_mul_f64 v[116:117], v[43:44], s[30:31]
	v_add_f64 v[39:40], v[141:142], v[39:40]
	v_add_f64 v[111:112], v[114:115], v[111:112]
	v_fma_f64 v[114:115], v[71:72], s[0:1], v[89:90]
	v_add_f64 v[87:88], v[91:92], v[87:88]
	v_fma_f64 v[89:90], v[71:72], s[0:1], -v[89:90]
	v_fma_f64 v[43:44], v[49:50], s[6:7], v[116:117]
	v_add_f64 v[109:110], v[114:115], v[109:110]
	v_fma_f64 v[114:115], v[65:66], s[14:15], -v[83:84]
	v_fma_f64 v[83:84], v[65:66], s[14:15], v[83:84]
	v_add_f64 v[85:86], v[89:90], v[85:86]
	v_fma_f64 v[65:66], v[65:66], s[20:21], v[97:98]
	v_add_f64 v[111:112], v[114:115], v[111:112]
	;; [unrolled: 2-line block ×3, first 2 shown]
	v_fma_f64 v[79:80], v[67:68], s[14:15], -v[79:80]
	v_fma_f64 v[67:68], v[67:68], s[20:21], -v[99:100]
	v_add_f64 v[109:110], v[114:115], v[109:110]
	v_fma_f64 v[114:115], v[57:58], s[22:23], -v[63:64]
	v_fma_f64 v[63:64], v[57:58], s[22:23], v[63:64]
	v_add_f64 v[79:80], v[79:80], v[85:86]
	v_fma_f64 v[57:58], v[57:58], s[14:15], v[105:106]
	v_add_f64 v[111:112], v[114:115], v[111:112]
	;; [unrolled: 2-line block ×3, first 2 shown]
	v_fma_f64 v[61:62], v[59:60], s[22:23], -v[61:62]
	v_fma_f64 v[59:60], v[59:60], s[14:15], -v[107:108]
	v_add_f64 v[109:110], v[114:115], v[109:110]
	v_fma_f64 v[114:115], v[55:56], s[18:19], -v[47:48]
	v_fma_f64 v[47:48], v[55:56], s[18:19], v[47:48]
	v_add_f64 v[61:62], v[61:62], v[79:80]
	v_fma_f64 v[55:56], v[55:56], s[6:7], v[103:104]
	v_add_f64 v[111:112], v[114:115], v[111:112]
	v_mul_f64 v[114:115], v[41:42], s[24:25]
	v_add_f64 v[47:48], v[47:48], v[63:64]
	v_fma_f64 v[41:42], v[53:54], s[18:19], v[114:115]
	v_fma_f64 v[63:64], v[53:54], s[18:19], -v[114:115]
	v_fma_f64 v[53:54], v[53:54], s[6:7], -v[101:102]
	v_add_f64 v[109:110], v[41:42], v[109:110]
	v_fma_f64 v[41:42], v[51:52], s[6:7], -v[45:46]
	v_add_f64 v[61:62], v[63:64], v[61:62]
	v_fma_f64 v[45:46], v[51:52], s[6:7], v[45:46]
	v_fma_f64 v[63:64], v[49:50], s[6:7], -v[116:117]
	v_fma_f64 v[51:52], v[51:52], s[0:1], v[81:82]
	v_add_f64 v[43:44], v[43:44], v[109:110]
	v_add_f64 v[41:42], v[41:42], v[111:112]
	;; [unrolled: 1-line block ×4, first 2 shown]
	v_fma_f64 v[61:62], v[69:70], s[18:19], v[93:94]
	v_fma_f64 v[63:64], v[71:72], s[18:19], -v[95:96]
	v_add_f64 v[61:62], v[61:62], v[73:74]
	v_add_f64 v[63:64], v[63:64], v[75:76]
	v_add_f64 v[61:62], v[65:66], v[61:62]
	v_add_f64 v[63:64], v[67:68], v[63:64]
	v_add_f64 v[57:58], v[57:58], v[61:62]
	v_add_f64 v[59:60], v[59:60], v[63:64]
	v_fma_f64 v[61:62], v[49:50], s[0:1], -v[77:78]
	v_cmp_gt_u32_e64 s0, 0x75, v0
	v_mad_u32_u24 v0, 0x750, v136, 0
                                        ; implicit-def: $vgpr63_vgpr64
	v_add_f64 v[49:50], v[55:56], v[57:58]
	v_add_f64 v[53:54], v[53:54], v[59:60]
                                        ; implicit-def: $vgpr59_vgpr60
                                        ; implicit-def: $vgpr55_vgpr56
	v_add_f64 v[49:50], v[51:52], v[49:50]
	v_add_f64 v[51:52], v[61:62], v[53:54]
	v_lshl_add_u32 v53, v113, 4, v0
	ds_write_b128 v53, v[9:12] offset:144
	ds_write_b128 v53, v[17:20] offset:288
	;; [unrolled: 1-line block ×12, first 2 shown]
	ds_write_b128 v53, v[1:4]
	v_mov_b32_e32 v53, v126
	s_waitcnt lgkmcnt(0)
	s_barrier
	buffer_gl0_inv
	v_mad_u64_u32 v[130:131], null, s9, v136, v[53:54]
	v_mov_b32_e32 v53, v128
	v_mad_u64_u32 v[131:132], null, s11, v113, v[53:54]
	s_and_saveexec_b32 s1, s0
	s_cbranch_execz .LBB0_14
; %bb.13:
	v_mul_i32_i24_e32 v1, 0xfffff940, v136
	v_lshlrev_b32_e32 v2, 4, v113
	v_add3_u32 v0, v0, v1, v2
	ds_read_b128 v[1:4], v0
	ds_read_b128 v[9:12], v0 offset:1872
	ds_read_b128 v[17:20], v0 offset:3744
	;; [unrolled: 1-line block ×15, first 2 shown]
.LBB0_14:
	s_or_b32 exec_lo, exec_lo, s1
	v_mul_lo_u16 v0, v136, 20
	v_mov_b32_e32 v126, 4
	s_mov_b32 s6, 0x667f3bcd
	s_mov_b32 s7, 0xbfe6a09e
	;; [unrolled: 1-line block ×3, first 2 shown]
	v_lshrrev_b16 v0, 8, v0
	s_mov_b32 s10, s6
	s_mov_b32 s19, 0x3fed906b
	;; [unrolled: 1-line block ×3, first 2 shown]
	s_and_b32 s1, s0, s33
	v_mul_lo_u16 v0, v0, 13
	v_sub_nc_u16 v0, v136, v0
	v_and_b32_e32 v0, 0xff, v0
	v_mul_u32_u24_e32 v65, 15, v0
	v_mul_lo_u32 v128, v129, v0
	v_add_nc_u32_e32 v143, 13, v0
	v_lshlrev_b32_e32 v65, 4, v65
	s_clause 0xe
	global_load_dwordx4 v[121:124], v65, s[16:17]
	global_load_dwordx4 v[113:116], v65, s[16:17] offset:16
	global_load_dwordx4 v[109:112], v65, s[16:17] offset:32
	global_load_dwordx4 v[105:108], v65, s[16:17] offset:48
	global_load_dwordx4 v[117:120], v65, s[16:17] offset:64
	global_load_dwordx4 v[97:100], v65, s[16:17] offset:80
	global_load_dwordx4 v[93:96], v65, s[16:17] offset:96
	global_load_dwordx4 v[89:92], v65, s[16:17] offset:112
	global_load_dwordx4 v[101:104], v65, s[16:17] offset:128
	global_load_dwordx4 v[85:88], v65, s[16:17] offset:144
	global_load_dwordx4 v[81:84], v65, s[16:17] offset:160
	global_load_dwordx4 v[77:80], v65, s[16:17] offset:176
	global_load_dwordx4 v[69:72], v65, s[16:17] offset:192
	global_load_dwordx4 v[132:135], v65, s[16:17] offset:208
	global_load_dwordx4 v[144:147], v65, s[16:17] offset:224
	v_bfe_u32 v65, v128, 8, 8
	v_lshlrev_b32_sdwa v66, v126, v128 dst_sel:DWORD dst_unused:UNUSED_PAD src0_sel:DWORD src1_sel:BYTE_0
	v_bfe_u32 v128, v128, 16, 8
	s_mov_b32 s16, 0xcf328d46
	s_mov_b32 s17, 0xbfed906b
	v_lshl_or_b32 v73, v65, 4, 0x1000
	s_mov_b32 s18, s16
	v_lshl_or_b32 v128, v128, 4, 0x2000
	s_clause 0x1
	global_load_dwordx4 v[65:68], v66, s[12:13]
	global_load_dwordx4 v[73:76], v73, s[12:13]
	s_waitcnt vmcnt(16) lgkmcnt(14)
	v_mul_f64 v[137:138], v[11:12], v[123:124]
	v_mul_f64 v[139:140], v[9:10], v[123:124]
	s_waitcnt vmcnt(15) lgkmcnt(13)
	v_mul_f64 v[141:142], v[19:20], v[115:116]
	v_mul_f64 v[148:149], v[17:18], v[115:116]
	;; [unrolled: 3-line block ×3, first 2 shown]
	s_waitcnt vmcnt(10) lgkmcnt(8)
	v_mul_f64 v[154:155], v[45:46], v[95:96]
	v_fma_f64 v[123:124], v[9:10], v[121:122], -v[137:138]
	v_fma_f64 v[115:116], v[11:12], v[121:122], v[139:140]
	v_mul_f64 v[9:10], v[23:24], v[111:112]
	v_mul_f64 v[11:12], v[21:22], v[111:112]
	v_mul_lo_u32 v137, v129, v143
	v_mul_f64 v[121:122], v[31:32], v[107:108]
	v_mul_f64 v[139:140], v[29:30], v[107:108]
	v_fma_f64 v[107:108], v[17:18], v[113:114], -v[141:142]
	v_fma_f64 v[113:114], v[19:20], v[113:114], v[148:149]
	v_add_nc_u32_e32 v138, 26, v0
	v_mul_f64 v[141:142], v[39:40], v[119:120]
	v_mul_f64 v[148:149], v[37:38], v[119:120]
	v_bfe_u32 v111, v137, 8, 8
	v_lshlrev_b32_sdwa v17, v126, v137 dst_sel:DWORD dst_unused:UNUSED_PAD src0_sel:DWORD src1_sel:BYTE_0
	v_mul_lo_u32 v138, v129, v138
	v_bfe_u32 v137, v137, 16, 8
	v_lshl_or_b32 v18, v111, 4, 0x1000
	v_lshl_or_b32 v137, v137, 4, 0x2000
	v_fma_f64 v[111:112], v[21:22], v[109:110], -v[9:10]
	v_fma_f64 v[109:110], v[23:24], v[109:110], v[11:12]
	s_clause 0x1
	global_load_dwordx4 v[9:12], v17, s[12:13]
	global_load_dwordx4 v[17:20], v18, s[12:13]
	v_bfe_u32 v21, v138, 8, 8
	v_lshlrev_b32_sdwa v22, v126, v138 dst_sel:DWORD dst_unused:UNUSED_PAD src0_sel:DWORD src1_sel:BYTE_0
	v_fma_f64 v[99:100], v[29:30], v[105:106], -v[121:122]
	v_fma_f64 v[105:106], v[31:32], v[105:106], v[139:140]
	v_add_nc_u32_e32 v139, 39, v0
	v_lshl_or_b32 v29, v21, 4, 0x1000
	v_mul_f64 v[121:122], v[47:48], v[95:96]
	v_fma_f64 v[119:120], v[37:38], v[117:118], -v[141:142]
	v_fma_f64 v[95:96], v[39:40], v[117:118], v[148:149]
	s_clause 0x1
	global_load_dwordx4 v[21:24], v22, s[12:13]
	global_load_dwordx4 v[29:32], v29, s[12:13]
	s_waitcnt vmcnt(13) lgkmcnt(7)
	v_mul_f64 v[140:141], v[35:36], v[91:92]
	v_fma_f64 v[117:118], v[41:42], v[97:98], -v[150:151]
	v_mul_f64 v[41:42], v[33:34], v[91:92]
	v_mul_lo_u32 v139, v129, v139
	v_fma_f64 v[97:98], v[43:44], v[97:98], v[152:153]
	s_waitcnt vmcnt(12) lgkmcnt(6)
	v_mul_f64 v[43:44], v[27:28], v[103:104]
	v_add_nc_u32_e32 v148, 52, v0
	v_mul_f64 v[142:143], v[25:26], v[103:104]
	v_bfe_u32 v37, v139, 8, 8
	v_lshlrev_b32_sdwa v38, v126, v139 dst_sel:DWORD dst_unused:UNUSED_PAD src0_sel:DWORD src1_sel:BYTE_0
	v_lshl_or_b32 v149, v37, 4, 0x1000
	global_load_dwordx4 v[37:40], v38, s[12:13]
	v_fma_f64 v[91:92], v[45:46], v[93:94], -v[121:122]
	v_fma_f64 v[93:94], v[47:48], v[93:94], v[154:155]
	s_waitcnt vmcnt(12) lgkmcnt(5)
	v_mul_f64 v[45:46], v[15:16], v[87:88]
	v_mul_f64 v[47:48], v[13:14], v[87:88]
	v_fma_f64 v[103:104], v[33:34], v[89:90], -v[140:141]
	s_waitcnt vmcnt(11) lgkmcnt(4)
	v_mul_f64 v[121:122], v[49:50], v[83:84]
	v_fma_f64 v[89:90], v[35:36], v[89:90], v[41:42]
	global_load_dwordx4 v[33:36], v149, s[12:13]
	v_mul_f64 v[41:42], v[51:52], v[83:84]
	v_mul_lo_u32 v140, v129, v148
	v_fma_f64 v[87:88], v[25:26], v[101:102], -v[43:44]
	s_waitcnt vmcnt(11) lgkmcnt(3)
	v_mul_f64 v[43:44], v[7:8], v[79:80]
	v_add_nc_u32_e32 v141, 0x41, v0
	v_fma_f64 v[83:84], v[27:28], v[101:102], v[142:143]
	v_add_nc_u32_e32 v101, 0x4e, v0
	v_add_nc_u32_e32 v143, 0x5b, v0
	v_bfe_u32 v148, v140, 8, 8
	v_lshlrev_b32_sdwa v25, v126, v140 dst_sel:DWORD dst_unused:UNUSED_PAD src0_sel:DWORD src1_sel:BYTE_0
	v_mul_lo_u32 v141, v129, v141
	v_mul_lo_u32 v142, v129, v101
	;; [unrolled: 1-line block ×3, first 2 shown]
	v_lshl_or_b32 v26, v148, 4, 0x1000
	v_mul_f64 v[148:149], v[5:6], v[79:80]
	v_fma_f64 v[79:80], v[13:14], v[85:86], -v[45:46]
	v_fma_f64 v[85:86], v[15:16], v[85:86], v[47:48]
	s_clause 0x1
	global_load_dwordx4 v[13:16], v25, s[12:13]
	global_load_dwordx4 v[25:28], v26, s[12:13]
	s_waitcnt vmcnt(12) lgkmcnt(2)
	v_mul_f64 v[45:46], v[59:60], v[71:72]
	v_mul_f64 v[47:48], v[57:58], v[71:72]
	v_fma_f64 v[71:72], v[49:50], v[81:82], -v[41:42]
	v_fma_f64 v[81:82], v[51:52], v[81:82], v[121:122]
	s_waitcnt vmcnt(11) lgkmcnt(1)
	v_mul_f64 v[49:50], v[63:64], v[134:135]
	v_mul_f64 v[51:52], v[61:62], v[134:135]
	v_bfe_u32 v41, v141, 8, 8
	v_bfe_u32 v121, v142, 8, 8
	v_lshlrev_b32_sdwa v42, v126, v141 dst_sel:DWORD dst_unused:UNUSED_PAD src0_sel:DWORD src1_sel:BYTE_0
	v_fma_f64 v[101:102], v[5:6], v[77:78], -v[43:44]
	s_waitcnt vmcnt(10) lgkmcnt(0)
	v_mul_f64 v[134:135], v[55:56], v[146:147]
	v_lshl_or_b32 v41, v41, 4, 0x1000
	v_mul_f64 v[146:147], v[53:54], v[146:147]
	v_add_f64 v[87:88], v[123:124], -v[87:88]
	v_add_f64 v[83:84], v[115:116], -v[83:84]
	v_fma_f64 v[77:78], v[7:8], v[77:78], v[148:149]
	v_lshlrev_b32_sdwa v148, v126, v142 dst_sel:DWORD dst_unused:UNUSED_PAD src0_sel:DWORD src1_sel:BYTE_0
	v_lshl_or_b32 v149, v121, 4, 0x1000
	s_clause 0x1
	global_load_dwordx4 v[5:8], v42, s[12:13]
	global_load_dwordx4 v[41:44], v41, s[12:13]
	v_fma_f64 v[121:122], v[57:58], v[69:70], -v[45:46]
	v_fma_f64 v[69:70], v[59:60], v[69:70], v[47:48]
	v_bfe_u32 v57, v143, 8, 8
	v_lshlrev_b32_sdwa v58, v126, v143 dst_sel:DWORD dst_unused:UNUSED_PAD src0_sel:DWORD src1_sel:BYTE_0
	v_fma_f64 v[61:62], v[61:62], v[132:133], -v[49:50]
	v_fma_f64 v[63:64], v[63:64], v[132:133], v[51:52]
	s_clause 0x1
	global_load_dwordx4 v[45:48], v148, s[12:13]
	global_load_dwordx4 v[49:52], v149, s[12:13]
	v_lshl_or_b32 v148, v57, 4, 0x1000
	global_load_dwordx4 v[57:60], v58, s[12:13]
	v_add_f64 v[85:86], v[113:114], -v[85:86]
	v_fma_f64 v[132:133], v[53:54], v[144:145], -v[134:135]
	v_add_f64 v[79:80], v[107:108], -v[79:80]
	v_fma_f64 v[134:135], v[55:56], v[144:145], v[146:147]
	s_clause 0x1
	global_load_dwordx4 v[144:147], v128, s[12:13]
	global_load_dwordx4 v[53:56], v148, s[12:13]
	s_waitcnt vmcnt(15)
	v_mul_f64 v[148:149], v[67:68], v[75:76]
	v_mul_f64 v[75:76], v[65:66], v[75:76]
	v_add_f64 v[77:78], v[105:106], -v[77:78]
	v_add_f64 v[81:82], v[109:110], -v[81:82]
	;; [unrolled: 1-line block ×3, first 2 shown]
	v_fma_f64 v[123:124], v[123:124], 2.0, -v[87:88]
	v_add_f64 v[69:70], v[95:96], -v[69:70]
	v_add_f64 v[61:62], v[117:118], -v[61:62]
	;; [unrolled: 1-line block ×3, first 2 shown]
	v_fma_f64 v[113:114], v[113:114], 2.0, -v[85:86]
	v_fma_f64 v[107:108], v[107:108], 2.0, -v[79:80]
	v_fma_f64 v[152:153], v[65:66], v[73:74], -v[148:149]
	v_fma_f64 v[154:155], v[67:68], v[73:74], v[75:76]
	global_load_dwordx4 v[65:68], v137, s[12:13]
	v_fma_f64 v[105:106], v[105:106], 2.0, -v[77:78]
	v_fma_f64 v[109:110], v[109:110], 2.0, -v[81:82]
	;; [unrolled: 1-line block ×5, first 2 shown]
	v_add_f64 v[63:64], v[79:80], -v[63:64]
	v_add_f64 v[61:62], v[85:86], v[61:62]
	v_add_f64 v[117:118], v[107:108], -v[117:118]
	v_add_f64 v[97:98], v[113:114], -v[97:98]
	v_fma_f64 v[79:80], v[79:80], 2.0, -v[63:64]
	v_fma_f64 v[85:86], v[85:86], 2.0, -v[61:62]
	;; [unrolled: 1-line block ×3, first 2 shown]
	s_waitcnt vmcnt(14)
	v_mul_f64 v[73:74], v[11:12], v[19:20]
	v_mul_f64 v[19:20], v[9:10], v[19:20]
	v_fma_f64 v[156:157], v[9:10], v[17:18], -v[73:74]
	v_fma_f64 v[158:159], v[11:12], v[17:18], v[19:20]
	s_waitcnt vmcnt(12)
	v_mul_f64 v[17:18], v[23:24], v[31:32]
	v_mul_f64 v[19:20], v[21:22], v[31:32]
	v_bfe_u32 v9, v138, 16, 8
	v_bfe_u32 v10, v139, 16, 8
	v_lshl_or_b32 v9, v9, 4, 0x2000
	v_lshl_or_b32 v31, v10, 4, 0x2000
	global_load_dwordx4 v[9:12], v9, s[12:13]
	v_fma_f64 v[160:161], v[21:22], v[29:30], -v[17:18]
	v_fma_f64 v[162:163], v[23:24], v[29:30], v[19:20]
	global_load_dwordx4 v[17:20], v31, s[12:13]
	s_waitcnt vmcnt(12)
	v_mul_f64 v[21:22], v[39:40], v[35:36]
	v_mul_f64 v[23:24], v[37:38], v[35:36]
	v_bfe_u32 v35, v142, 16, 8
	v_bfe_u32 v36, v143, 16, 8
	s_waitcnt vmcnt(10)
	v_mul_f64 v[31:32], v[15:16], v[27:28]
	v_lshl_or_b32 v35, v35, 4, 0x2000
	v_lshl_or_b32 v36, v36, 4, 0x2000
	v_fma_f64 v[164:165], v[37:38], v[33:34], -v[21:22]
	v_fma_f64 v[166:167], v[39:40], v[33:34], v[23:24]
	v_mul_f64 v[33:34], v[13:14], v[27:28]
	v_bfe_u32 v21, v140, 16, 8
	v_bfe_u32 v22, v141, 16, 8
	v_fma_f64 v[168:169], v[13:14], v[25:26], -v[31:32]
	s_waitcnt vmcnt(8)
	v_mul_f64 v[13:14], v[7:8], v[43:44]
	v_lshl_or_b32 v21, v21, 4, 0x2000
	v_lshl_or_b32 v27, v22, 4, 0x2000
	s_clause 0x1
	global_load_dwordx4 v[21:24], v21, s[12:13]
	global_load_dwordx4 v[27:30], v27, s[12:13]
	s_waitcnt vmcnt(8)
	v_mul_f64 v[31:32], v[47:48], v[51:52]
	v_fma_f64 v[25:26], v[15:16], v[25:26], v[33:34]
	v_mul_f64 v[15:16], v[5:6], v[43:44]
	v_mul_f64 v[33:34], v[45:46], v[51:52]
	v_fma_f64 v[141:142], v[5:6], v[41:42], -v[13:14]
	v_fma_f64 v[172:173], v[45:46], v[49:50], -v[31:32]
	s_waitcnt vmcnt(5)
	v_mul_f64 v[31:32], v[57:58], v[55:56]
	v_fma_f64 v[170:171], v[7:8], v[41:42], v[15:16]
	s_clause 0x1
	global_load_dwordx4 v[5:8], v35, s[12:13]
	global_load_dwordx4 v[13:16], v36, s[12:13]
	v_mul_f64 v[35:36], v[59:60], v[55:56]
	v_fma_f64 v[174:175], v[47:48], v[49:50], v[33:34]
	v_add_nc_u32_e32 v33, 0x68, v0
	v_add_nc_u32_e32 v42, 0x75, v0
	v_mul_lo_u32 v41, v129, v33
	v_mul_lo_u32 v42, v129, v42
	v_fma_f64 v[59:60], v[59:60], v[53:54], v[31:32]
	v_bfe_u32 v33, v41, 8, 8
	v_lshlrev_b32_sdwa v34, v126, v41 dst_sel:DWORD dst_unused:UNUSED_PAD src0_sel:DWORD src1_sel:BYTE_0
	v_bfe_u32 v43, v42, 8, 8
	v_lshl_or_b32 v37, v33, 4, 0x1000
	v_fma_f64 v[176:177], v[57:58], v[53:54], -v[35:36]
	s_clause 0x1
	global_load_dwordx4 v[31:34], v34, s[12:13]
	global_load_dwordx4 v[35:38], v37, s[12:13]
	v_lshl_or_b32 v43, v43, 4, 0x1000
	s_waitcnt vmcnt(0)
	v_mul_f64 v[39:40], v[33:34], v[37:38]
	v_mul_f64 v[37:38], v[31:32], v[37:38]
	v_fma_f64 v[178:179], v[31:32], v[35:36], -v[39:40]
	v_fma_f64 v[180:181], v[33:34], v[35:36], v[37:38]
	v_lshlrev_b32_sdwa v35, v126, v42 dst_sel:DWORD dst_unused:UNUSED_PAD src0_sel:DWORD src1_sel:BYTE_0
	s_clause 0x1
	global_load_dwordx4 v[31:34], v43, s[12:13]
	global_load_dwordx4 v[35:38], v35, s[12:13]
	v_bfe_u32 v39, v41, 16, 8
	v_bfe_u32 v40, v42, 16, 8
	v_lshl_or_b32 v39, v39, 4, 0x2000
	v_lshl_or_b32 v43, v40, 4, 0x2000
	s_clause 0x1
	global_load_dwordx4 v[39:42], v39, s[12:13]
	global_load_dwordx4 v[43:46], v43, s[12:13]
	s_waitcnt vmcnt(2)
	v_mul_f64 v[47:48], v[37:38], v[33:34]
	v_mul_f64 v[33:34], v[35:36], v[33:34]
	v_fma_f64 v[182:183], v[35:36], v[31:32], -v[47:48]
	v_fma_f64 v[184:185], v[37:38], v[31:32], v[33:34]
	v_add_nc_u32_e32 v31, 0x82, v0
	v_mul_lo_u32 v49, v129, v31
	v_bfe_u32 v31, v49, 8, 8
	v_lshl_or_b32 v35, v31, 4, 0x1000
	v_lshlrev_b32_sdwa v31, v126, v49 dst_sel:DWORD dst_unused:UNUSED_PAD src0_sel:DWORD src1_sel:BYTE_0
	s_clause 0x1
	global_load_dwordx4 v[31:34], v31, s[12:13]
	global_load_dwordx4 v[35:38], v35, s[12:13]
	s_waitcnt vmcnt(0)
	v_mul_f64 v[47:48], v[33:34], v[37:38]
	v_fma_f64 v[186:187], v[31:32], v[35:36], -v[47:48]
	v_mul_f64 v[31:32], v[31:32], v[37:38]
	v_fma_f64 v[188:189], v[33:34], v[35:36], v[31:32]
	v_add_nc_u32_e32 v31, 0x8f, v0
	v_bfe_u32 v32, v49, 16, 8
	v_mul_lo_u32 v31, v129, v31
	v_lshl_or_b32 v47, v32, 4, 0x2000
	v_bfe_u32 v33, v31, 8, 8
	v_bfe_u32 v34, v31, 16, 8
	v_lshlrev_b32_sdwa v35, v126, v31 dst_sel:DWORD dst_unused:UNUSED_PAD src0_sel:DWORD src1_sel:BYTE_0
	v_lshl_or_b32 v33, v33, 4, 0x1000
	v_lshl_or_b32 v51, v34, 4, 0x2000
	s_clause 0x3
	global_load_dwordx4 v[31:34], v33, s[12:13]
	global_load_dwordx4 v[35:38], v35, s[12:13]
	;; [unrolled: 1-line block ×4, first 2 shown]
	s_waitcnt vmcnt(2)
	v_mul_f64 v[55:56], v[37:38], v[33:34]
	v_mul_f64 v[33:34], v[35:36], v[33:34]
	v_fma_f64 v[190:191], v[35:36], v[31:32], -v[55:56]
	v_fma_f64 v[192:193], v[37:38], v[31:32], v[33:34]
	v_add_nc_u32_e32 v31, 0x9c, v0
	v_mul_lo_u32 v57, v129, v31
	v_bfe_u32 v31, v57, 8, 8
	v_lshl_or_b32 v35, v31, 4, 0x1000
	v_lshlrev_b32_sdwa v31, v126, v57 dst_sel:DWORD dst_unused:UNUSED_PAD src0_sel:DWORD src1_sel:BYTE_0
	s_clause 0x1
	global_load_dwordx4 v[31:34], v31, s[12:13]
	global_load_dwordx4 v[35:38], v35, s[12:13]
	s_waitcnt vmcnt(0)
	v_mul_f64 v[55:56], v[33:34], v[37:38]
	v_fma_f64 v[194:195], v[31:32], v[35:36], -v[55:56]
	v_mul_f64 v[31:32], v[31:32], v[37:38]
	v_fma_f64 v[196:197], v[33:34], v[35:36], v[31:32]
	v_add_nc_u32_e32 v31, 0xa9, v0
	v_bfe_u32 v32, v57, 16, 8
	v_mul_lo_u32 v31, v129, v31
	v_lshl_or_b32 v55, v32, 4, 0x2000
	v_bfe_u32 v33, v31, 8, 8
	v_bfe_u32 v34, v31, 16, 8
	v_lshlrev_b32_sdwa v35, v126, v31 dst_sel:DWORD dst_unused:UNUSED_PAD src0_sel:DWORD src1_sel:BYTE_0
	v_lshl_or_b32 v33, v33, 4, 0x1000
	v_lshl_or_b32 v73, v34, 4, 0x2000
	s_clause 0x3
	global_load_dwordx4 v[31:34], v33, s[12:13]
	global_load_dwordx4 v[35:38], v35, s[12:13]
	;; [unrolled: 1-line block ×4, first 2 shown]
	s_waitcnt vmcnt(2)
	v_mul_f64 v[137:138], v[37:38], v[33:34]
	v_mul_f64 v[33:34], v[35:36], v[33:34]
	v_fma_f64 v[198:199], v[35:36], v[31:32], -v[137:138]
	v_fma_f64 v[200:201], v[37:38], v[31:32], v[33:34]
	v_add_nc_u32_e32 v31, 0xb6, v0
	v_add_nc_u32_e32 v0, 0xc3, v0
	v_mul_lo_u32 v128, v129, v31
	v_mul_lo_u32 v0, v129, v0
	v_bfe_u32 v31, v128, 8, 8
	v_lshl_or_b32 v35, v31, 4, 0x1000
	v_lshlrev_b32_sdwa v31, v126, v128 dst_sel:DWORD dst_unused:UNUSED_PAD src0_sel:DWORD src1_sel:BYTE_0
	s_clause 0x1
	global_load_dwordx4 v[31:34], v31, s[12:13]
	global_load_dwordx4 v[35:38], v35, s[12:13]
	s_waitcnt vmcnt(0)
	v_mul_f64 v[137:138], v[33:34], v[37:38]
	v_fma_f64 v[202:203], v[31:32], v[35:36], -v[137:138]
	v_mul_f64 v[31:32], v[31:32], v[37:38]
	v_fma_f64 v[204:205], v[33:34], v[35:36], v[31:32]
	v_bfe_u32 v32, v0, 8, 8
	v_bfe_u32 v31, v128, 16, 8
	v_lshlrev_b32_sdwa v35, v126, v0 dst_sel:DWORD dst_unused:UNUSED_PAD src0_sel:DWORD src1_sel:BYTE_0
	v_bfe_u32 v0, v0, 16, 8
	v_lshl_or_b32 v32, v32, 4, 0x1000
	v_lshl_or_b32 v126, v31, 4, 0x2000
	;; [unrolled: 1-line block ×3, first 2 shown]
	s_clause 0x3
	global_load_dwordx4 v[31:34], v32, s[12:13]
	global_load_dwordx4 v[35:38], v35, s[12:13]
	;; [unrolled: 1-line block ×4, first 2 shown]
	s_mov_b32 s12, 0xa6aea964
	s_mov_b32 s13, 0xbfd87de2
	;; [unrolled: 1-line block ×3, first 2 shown]
	v_mov_b32_e32 v126, v130
	s_waitcnt vmcnt(2)
	v_mul_f64 v[128:129], v[37:38], v[33:34]
	v_mul_f64 v[33:34], v[35:36], v[33:34]
	v_fma_f64 v[206:207], v[35:36], v[31:32], -v[128:129]
	v_fma_f64 v[31:32], v[37:38], v[31:32], v[33:34]
	v_mul_f64 v[33:34], v[154:155], v[146:147]
	v_mul_f64 v[128:129], v[158:159], v[67:68]
	;; [unrolled: 1-line block ×3, first 2 shown]
	v_fma_f64 v[36:37], v[144:145], v[152:153], -v[33:34]
	v_mul_f64 v[33:34], v[152:153], v[146:147]
	v_fma_f64 v[33:34], v[144:145], v[154:155], v[33:34]
	v_fma_f64 v[143:144], v[65:66], v[156:157], -v[128:129]
	v_mul_f64 v[128:129], v[166:167], v[19:20]
	v_mul_f64 v[19:20], v[164:165], v[19:20]
	v_fma_f64 v[65:66], v[65:66], v[158:159], v[67:68]
	v_mul_f64 v[67:68], v[162:163], v[11:12]
	v_mul_f64 v[11:12], v[160:161], v[11:12]
	s_waitcnt vmcnt(0)
	v_mul_f64 v[156:157], v[31:32], v[150:151]
	v_fma_f64 v[145:146], v[17:18], v[164:165], -v[128:129]
	v_fma_f64 v[17:18], v[17:18], v[166:167], v[19:20]
	v_mul_f64 v[19:20], v[25:26], v[23:24]
	v_mul_f64 v[23:24], v[168:169], v[23:24]
	v_fma_f64 v[67:68], v[9:10], v[160:161], -v[67:68]
	v_fma_f64 v[10:11], v[9:10], v[162:163], v[11:12]
	v_fma_f64 v[19:20], v[21:22], v[168:169], -v[19:20]
	v_fma_f64 v[21:22], v[21:22], v[25:26], v[23:24]
	v_mul_f64 v[23:24], v[170:171], v[29:30]
	v_fma_f64 v[152:153], v[27:28], v[141:142], -v[23:24]
	v_mul_f64 v[23:24], v[141:142], v[29:30]
	v_fma_f64 v[28:29], v[27:28], v[170:171], v[23:24]
	v_mul_f64 v[23:24], v[174:175], v[7:8]
	v_mul_f64 v[7:8], v[172:173], v[7:8]
	v_fma_f64 v[26:27], v[5:6], v[172:173], -v[23:24]
	v_fma_f64 v[5:6], v[5:6], v[174:175], v[7:8]
	v_mul_f64 v[7:8], v[59:60], v[15:16]
	v_mul_f64 v[23:24], v[184:185], v[45:46]
	v_fma_f64 v[141:142], v[13:14], v[176:177], -v[7:8]
	v_mul_f64 v[7:8], v[176:177], v[15:16]
	v_fma_f64 v[7:8], v[13:14], v[59:60], v[7:8]
	v_mul_f64 v[12:13], v[180:181], v[41:42]
	v_mul_f64 v[14:15], v[178:179], v[41:42]
	v_fma_f64 v[12:13], v[39:40], v[178:179], -v[12:13]
	v_fma_f64 v[14:15], v[39:40], v[180:181], v[14:15]
	v_fma_f64 v[38:39], v[43:44], v[182:183], -v[23:24]
	v_mul_f64 v[23:24], v[182:183], v[45:46]
	v_mul_f64 v[40:41], v[192:193], v[53:54]
	v_fma_f64 v[44:45], v[43:44], v[184:185], v[23:24]
	v_mul_f64 v[23:24], v[188:189], v[49:50]
	v_mul_f64 v[42:43], v[196:197], v[57:58]
	v_fma_f64 v[59:60], v[47:48], v[186:187], -v[23:24]
	v_mul_f64 v[23:24], v[186:187], v[49:50]
	v_fma_f64 v[42:43], v[55:56], v[194:195], -v[42:43]
	v_fma_f64 v[23:24], v[47:48], v[188:189], v[23:24]
	v_fma_f64 v[46:47], v[51:52], v[190:191], -v[40:41]
	v_mul_f64 v[40:41], v[190:191], v[53:54]
	v_mul_f64 v[48:49], v[194:195], v[57:58]
	v_add_f64 v[57:58], v[99:100], -v[101:102]
	v_add_f64 v[101:102], v[119:120], -v[121:122]
	;; [unrolled: 1-line block ×3, first 2 shown]
	v_fma_f64 v[69:70], v[95:96], 2.0, -v[69:70]
	v_fma_f64 v[95:96], v[115:116], 2.0, -v[83:84]
	v_fma_f64 v[40:41], v[51:52], v[192:193], v[40:41]
	v_add_f64 v[50:51], v[1:2], -v[103:104]
	v_add_f64 v[52:53], v[3:4], -v[89:90]
	;; [unrolled: 1-line block ×4, first 2 shown]
	v_fma_f64 v[48:49], v[55:56], v[196:197], v[48:49]
	v_mul_f64 v[54:55], v[200:201], v[75:76]
	v_mul_f64 v[75:76], v[198:199], v[75:76]
	v_fma_f64 v[99:100], v[99:100], 2.0, -v[57:58]
	v_fma_f64 v[119:120], v[119:120], 2.0, -v[101:102]
	v_add_f64 v[101:102], v[83:84], v[101:102]
	v_fma_f64 v[87:88], v[87:88], 2.0, -v[121:122]
	v_add_f64 v[69:70], v[95:96], -v[69:70]
	v_add_f64 v[77:78], v[50:51], -v[77:78]
	v_add_f64 v[56:57], v[52:53], v[57:58]
	v_fma_f64 v[93:94], v[93:94], 2.0, -v[89:90]
	v_add_f64 v[89:90], v[71:72], -v[89:90]
	v_fma_f64 v[91:92], v[91:92], 2.0, -v[103:104]
	v_add_f64 v[103:104], v[81:82], v[103:104]
	v_fma_f64 v[0:1], v[1:2], 2.0, -v[50:51]
	v_fma_f64 v[2:3], v[3:4], 2.0, -v[52:53]
	v_fma_f64 v[54:55], v[73:74], v[198:199], -v[54:55]
	v_fma_f64 v[73:74], v[73:74], v[200:201], v[75:76]
	v_fma_f64 v[83:84], v[83:84], 2.0, -v[101:102]
	v_add_f64 v[119:120], v[123:124], -v[119:120]
	v_fma_f64 v[95:96], v[95:96], 2.0, -v[69:70]
	v_fma_f64 v[75:76], v[63:64], s[10:11], v[77:78]
	v_fma_f64 v[50:51], v[50:51], 2.0, -v[77:78]
	v_fma_f64 v[52:53], v[52:53], 2.0, -v[56:57]
	v_fma_f64 v[115:116], v[89:90], s[10:11], v[121:122]
	v_fma_f64 v[71:72], v[71:72], 2.0, -v[89:90]
	v_fma_f64 v[81:82], v[81:82], 2.0, -v[103:104]
	v_add_f64 v[93:94], v[109:110], -v[93:94]
	v_add_f64 v[99:100], v[0:1], -v[99:100]
	;; [unrolled: 1-line block ×4, first 2 shown]
	v_fma_f64 v[128:129], v[61:62], s[10:11], v[56:57]
	v_fma_f64 v[132:133], v[103:104], s[10:11], v[101:102]
	v_fma_f64 v[123:124], v[123:124], 2.0, -v[119:120]
	v_fma_f64 v[61:62], v[61:62], s[6:7], v[75:76]
	v_fma_f64 v[75:76], v[113:114], 2.0, -v[97:98]
	v_fma_f64 v[113:114], v[79:80], s[6:7], v[50:51]
	v_fma_f64 v[103:104], v[103:104], s[6:7], v[115:116]
	;; [unrolled: 1-line block ×5, first 2 shown]
	v_fma_f64 v[109:110], v[109:110], 2.0, -v[93:94]
	v_add_f64 v[97:98], v[99:100], -v[97:98]
	v_add_f64 v[93:94], v[119:120], -v[93:94]
	v_fma_f64 v[111:112], v[111:112], 2.0, -v[91:92]
	v_fma_f64 v[0:1], v[0:1], 2.0, -v[99:100]
	;; [unrolled: 1-line block ×3, first 2 shown]
	v_add_f64 v[117:118], v[105:106], v[117:118]
	v_add_f64 v[91:92], v[69:70], v[91:92]
	v_fma_f64 v[63:64], v[63:64], s[10:11], v[128:129]
	v_fma_f64 v[89:90], v[89:90], s[10:11], v[132:133]
	v_mov_b32_e32 v128, v131
	v_mul_f64 v[131:132], v[204:205], v[139:140]
	v_mul_f64 v[139:140], v[202:203], v[139:140]
	v_fma_f64 v[129:130], v[148:149], v[206:207], -v[156:157]
	v_fma_f64 v[77:78], v[77:78], 2.0, -v[61:62]
	v_fma_f64 v[85:86], v[85:86], s[6:7], v[113:114]
	v_fma_f64 v[121:122], v[121:122], 2.0, -v[103:104]
	v_fma_f64 v[79:80], v[79:80], s[10:11], v[115:116]
	v_fma_f64 v[81:82], v[81:82], s[6:7], v[134:135]
	;; [unrolled: 1-line block ×3, first 2 shown]
	v_add_f64 v[109:110], v[95:96], -v[109:110]
	v_fma_f64 v[99:100], v[99:100], 2.0, -v[97:98]
	v_fma_f64 v[113:114], v[93:94], s[10:11], v[97:98]
	v_fma_f64 v[119:120], v[119:120], 2.0, -v[93:94]
	v_add_f64 v[107:108], v[0:1], -v[107:108]
	v_add_f64 v[75:76], v[2:3], -v[75:76]
	;; [unrolled: 1-line block ×3, first 2 shown]
	v_fma_f64 v[115:116], v[91:92], s[10:11], v[117:118]
	v_fma_f64 v[105:106], v[105:106], 2.0, -v[117:118]
	v_fma_f64 v[133:134], v[103:104], s[18:19], v[61:62]
	v_fma_f64 v[69:70], v[69:70], 2.0, -v[91:92]
	v_fma_f64 v[154:155], v[89:90], s[18:19], v[63:64]
	v_fma_f64 v[56:57], v[56:57], 2.0, -v[63:64]
	v_fma_f64 v[101:102], v[101:102], 2.0, -v[89:90]
	v_fma_f64 v[131:132], v[137:138], v[202:203], -v[131:132]
	v_fma_f64 v[137:138], v[137:138], v[204:205], v[139:140]
	v_mul_f64 v[139:140], v[206:207], v[150:151]
	v_fma_f64 v[50:51], v[50:51], 2.0, -v[85:86]
	v_fma_f64 v[52:53], v[52:53], 2.0, -v[79:80]
	;; [unrolled: 1-line block ×5, first 2 shown]
	v_fma_f64 v[158:159], v[71:72], s[14:15], v[79:80]
	v_fma_f64 v[91:92], v[91:92], s[6:7], v[113:114]
	;; [unrolled: 1-line block ×3, first 2 shown]
	v_fma_f64 v[0:1], v[0:1], 2.0, -v[107:108]
	v_fma_f64 v[2:3], v[2:3], 2.0, -v[75:76]
	;; [unrolled: 1-line block ×3, first 2 shown]
	v_add_f64 v[111:112], v[75:76], v[111:112]
	v_add_f64 v[109:110], v[107:108], -v[109:110]
	v_fma_f64 v[93:94], v[93:94], s[10:11], v[115:116]
	v_fma_f64 v[89:90], v[89:90], s[12:13], v[133:134]
	;; [unrolled: 1-line block ×11, first 2 shown]
	v_fma_f64 v[97:98], v[97:98], 2.0, -v[91:92]
	v_fma_f64 v[69:70], v[69:70], s[6:7], v[113:114]
	v_add_f64 v[95:96], v[2:3], -v[95:96]
	v_add_f64 v[123:124], v[0:1], -v[123:124]
	v_mul_f64 v[156:157], v[111:112], v[48:49]
	v_mul_f64 v[48:49], v[109:110], v[48:49]
	v_fma_f64 v[75:76], v[75:76], 2.0, -v[111:112]
	v_fma_f64 v[107:108], v[107:108], 2.0, -v[109:110]
	v_fma_f64 v[113:114], v[119:120], s[10:11], v[115:116]
	v_fma_f64 v[117:118], v[117:118], 2.0, -v[93:94]
	v_fma_f64 v[101:102], v[101:102], s[16:17], v[133:134]
	v_fma_f64 v[115:116], v[121:122], s[18:19], v[150:151]
	;; [unrolled: 1-line block ×3, first 2 shown]
	v_fma_f64 v[63:64], v[63:64], 2.0, -v[103:104]
	v_fma_f64 v[61:62], v[61:62], 2.0, -v[89:90]
	v_mul_f64 v[119:120], v[93:94], v[137:138]
	v_mul_f64 v[121:122], v[91:92], v[137:138]
	v_fma_f64 v[83:84], v[83:84], s[12:13], v[139:140]
	v_fma_f64 v[87:88], v[87:88], s[14:15], v[147:148]
	v_mul_f64 v[133:134], v[103:104], v[30:31]
	v_mul_f64 v[137:138], v[89:90], v[30:31]
	v_fma_f64 v[79:80], v[79:80], 2.0, -v[81:82]
	v_mul_f64 v[154:155], v[81:82], v[73:74]
	v_fma_f64 v[147:148], v[2:3], 2.0, -v[95:96]
	v_fma_f64 v[139:140], v[0:1], 2.0, -v[123:124]
	v_fma_f64 v[0:1], v[109:110], v[42:43], -v[156:157]
	v_fma_f64 v[2:3], v[111:112], v[42:43], v[48:49]
	v_mul_f64 v[30:31], v[75:76], v[21:22]
	v_mul_f64 v[21:22], v[107:108], v[21:22]
	v_fma_f64 v[48:49], v[99:100], 2.0, -v[69:70]
	v_fma_f64 v[99:100], v[105:106], 2.0, -v[113:114]
	;; [unrolled: 1-line block ×5, first 2 shown]
	v_mul_f64 v[105:106], v[117:118], v[5:6]
	v_mul_f64 v[109:110], v[97:98], v[5:6]
	;; [unrolled: 1-line block ×4, first 2 shown]
	v_fma_f64 v[4:5], v[91:92], v[131:132], -v[119:120]
	v_fma_f64 v[6:7], v[93:94], v[131:132], v[121:122]
	v_fma_f64 v[119:120], v[52:53], 2.0, -v[87:88]
	v_fma_f64 v[121:122], v[50:51], 2.0, -v[83:84]
	v_mul_f64 v[91:92], v[95:96], v[14:15]
	v_mul_f64 v[14:15], v[123:124], v[14:15]
	;; [unrolled: 1-line block ×7, first 2 shown]
	v_fma_f64 v[8:9], v[89:90], v[129:130], -v[133:134]
	v_fma_f64 v[40:41], v[107:108], v[19:20], -v[30:31]
	v_fma_f64 v[42:43], v[75:76], v[19:20], v[21:22]
	v_mul_f64 v[75:76], v[33:34], v[147:148]
	v_mul_f64 v[89:90], v[33:34], v[139:140]
	;; [unrolled: 1-line block ×4, first 2 shown]
	v_fma_f64 v[24:25], v[97:98], v[26:27], -v[105:106]
	v_fma_f64 v[26:27], v[117:118], v[26:27], v[109:110]
	v_mul_f64 v[97:98], v[56:57], v[17:18]
	v_mul_f64 v[105:106], v[77:78], v[17:18]
	;; [unrolled: 1-line block ×8, first 2 shown]
	v_fma_f64 v[28:29], v[61:62], v[141:142], -v[111:112]
	v_fma_f64 v[30:31], v[63:64], v[141:142], v[149:150]
	v_fma_f64 v[32:33], v[123:124], v[12:13], -v[91:92]
	v_fma_f64 v[34:35], v[95:96], v[12:13], v[14:15]
	;; [unrolled: 2-line block ×11, first 2 shown]
	v_fma_f64 v[10:11], v[103:104], v[129:130], v[137:138]
	v_lshlrev_b64 v[66:67], 4, v[127:128]
	v_lshlrev_b64 v[64:65], 4, v[125:126]
	v_add_nc_u32_e32 v82, 13, v136
	v_add_nc_u32_e32 v80, 26, v136
	;; [unrolled: 1-line block ×15, first 2 shown]
	s_and_saveexec_b32 s6, s1
	s_cbranch_execz .LBB0_16
; %bb.15:
	v_mad_u64_u32 v[83:84], null, s8, v82, 0
	v_mad_u64_u32 v[85:86], null, s8, v80, 0
	;; [unrolled: 1-line block ×3, first 2 shown]
	s_lshl_b64 s[10:11], s[2:3], 4
	s_add_u32 s1, s4, s10
	s_addc_u32 s7, s5, s11
	v_mad_u64_u32 v[89:90], null, s9, v82, v[84:85]
	v_mad_u64_u32 v[92:93], null, s9, v80, v[86:87]
	;; [unrolled: 1-line block ×3, first 2 shown]
	v_add_co_u32 v100, s1, s1, v66
	v_add_co_ci_u32_e64 v101, s1, s7, v67, s1
	v_mov_b32_e32 v84, v89
	v_add_co_u32 v90, s1, v100, v64
	v_mad_u64_u32 v[88:89], null, s9, v81, v[88:89]
	v_mov_b32_e32 v86, v92
	v_add_co_ci_u32_e64 v91, s1, v101, v65, s1
	v_lshlrev_b64 v[83:84], 4, v[83:84]
	v_mov_b32_e32 v89, v94
	v_lshlrev_b64 v[85:86], 4, v[85:86]
	global_store_dwordx4 v[90:91], v[60:63], off
	v_lshlrev_b64 v[87:88], 4, v[87:88]
	v_mad_u64_u32 v[89:90], null, s9, v79, v[89:90]
	v_add_co_u32 v83, s1, v100, v83
	v_add_co_ci_u32_e64 v84, s1, v101, v84, s1
	v_add_co_u32 v85, s1, v100, v85
	v_mad_u64_u32 v[90:91], null, s8, v78, 0
	v_add_co_ci_u32_e64 v86, s1, v101, v86, s1
	v_add_co_u32 v87, s1, v100, v87
	v_mov_b32_e32 v94, v89
	v_add_co_ci_u32_e64 v88, s1, v101, v88, s1
	global_store_dwordx4 v[83:84], v[56:59], off
	global_store_dwordx4 v[85:86], v[48:51], off
	;; [unrolled: 1-line block ×3, first 2 shown]
	v_lshlrev_b64 v[84:85], 4, v[93:94]
	v_mov_b32_e32 v83, v91
	v_mad_u64_u32 v[92:93], null, s8, v77, 0
	v_mad_u64_u32 v[94:95], null, s8, v75, 0
	;; [unrolled: 1-line block ×4, first 2 shown]
	v_add_co_u32 v83, s1, v100, v84
	v_add_co_ci_u32_e64 v84, s1, v101, v85, s1
	v_mov_b32_e32 v91, v86
	v_mov_b32_e32 v85, v88
	global_store_dwordx4 v[83:84], v[40:43], off
	v_mov_b32_e32 v83, v93
	v_lshlrev_b64 v[88:89], 4, v[90:91]
	v_mad_u64_u32 v[90:91], null, s8, v74, 0
	v_mad_u64_u32 v[84:85], null, s9, v76, v[85:86]
	v_mad_u64_u32 v[85:86], null, s9, v77, v[83:84]
	v_mov_b32_e32 v83, v95
	v_add_co_u32 v95, s1, v100, v88
	v_mov_b32_e32 v88, v84
	v_add_co_ci_u32_e64 v96, s1, v101, v89, s1
	v_mov_b32_e32 v93, v85
	v_mad_u64_u32 v[83:84], null, s9, v75, v[83:84]
	v_lshlrev_b64 v[85:86], 4, v[87:88]
	v_mov_b32_e32 v84, v91
	v_lshlrev_b64 v[87:88], 4, v[92:93]
	global_store_dwordx4 v[95:96], v[44:47], off
	v_mad_u64_u32 v[91:92], null, s9, v74, v[84:85]
	v_mad_u64_u32 v[92:93], null, s8, v73, 0
	v_mov_b32_e32 v95, v83
	v_add_co_u32 v83, s1, v100, v85
	v_add_co_ci_u32_e64 v84, s1, v101, v86, s1
	v_lshlrev_b64 v[85:86], 4, v[94:95]
	v_lshlrev_b64 v[90:91], 4, v[90:91]
	v_mov_b32_e32 v89, v93
	v_add_co_u32 v87, s1, v100, v87
	v_add_co_ci_u32_e64 v88, s1, v101, v88, s1
	v_add_co_u32 v85, s1, v100, v85
	v_mad_u64_u32 v[93:94], null, s9, v73, v[89:90]
	v_add_co_ci_u32_e64 v86, s1, v101, v86, s1
	v_mad_u64_u32 v[94:95], null, s8, v72, 0
	v_add_co_u32 v89, s1, v100, v90
	v_add_co_ci_u32_e64 v90, s1, v101, v91, s1
	global_store_dwordx4 v[83:84], v[24:27], off
	global_store_dwordx4 v[87:88], v[28:31], off
	;; [unrolled: 1-line block ×4, first 2 shown]
	v_mad_u64_u32 v[86:87], null, s8, v70, 0
	v_mov_b32_e32 v85, v95
	v_mad_u64_u32 v[88:89], null, s8, v71, 0
	v_lshlrev_b64 v[83:84], 4, v[92:93]
	v_mad_u64_u32 v[90:91], null, s9, v72, v[85:86]
	v_mov_b32_e32 v85, v87
	v_mov_b32_e32 v87, v89
	v_add_co_u32 v83, s1, v100, v83
	v_mad_u64_u32 v[91:92], null, s8, v69, 0
	v_add_co_ci_u32_e64 v84, s1, v101, v84, s1
	v_mov_b32_e32 v95, v90
	v_mad_u64_u32 v[96:97], null, s9, v70, v[85:86]
	v_mad_u64_u32 v[97:98], null, s9, v71, v[87:88]
	;; [unrolled: 1-line block ×3, first 2 shown]
	global_store_dwordx4 v[83:84], v[20:23], off
	v_lshlrev_b64 v[84:85], 4, v[94:95]
	v_mov_b32_e32 v83, v92
	v_mov_b32_e32 v87, v96
	;; [unrolled: 1-line block ×3, first 2 shown]
	v_mad_u64_u32 v[92:93], null, s9, v69, v[83:84]
	v_mov_b32_e32 v83, v99
	v_add_co_u32 v84, s1, v100, v84
	v_lshlrev_b64 v[86:87], 4, v[86:87]
	v_lshlrev_b64 v[88:89], 4, v[88:89]
	v_add_co_ci_u32_e64 v85, s1, v101, v85, s1
	v_mad_u64_u32 v[93:94], null, s9, v68, v[83:84]
	v_add_co_u32 v86, s1, v100, v86
	v_lshlrev_b64 v[90:91], 4, v[91:92]
	v_add_co_ci_u32_e64 v87, s1, v101, v87, s1
	v_add_co_u32 v88, s1, v100, v88
	v_mov_b32_e32 v99, v93
	v_add_co_ci_u32_e64 v89, s1, v101, v89, s1
	v_add_co_u32 v90, s1, v100, v90
	v_lshlrev_b64 v[92:93], 4, v[98:99]
	v_add_co_ci_u32_e64 v91, s1, v101, v91, s1
	v_add_co_u32 v92, s1, v100, v92
	v_add_co_ci_u32_e64 v93, s1, v101, v93, s1
	global_store_dwordx4 v[84:85], v[16:19], off
	global_store_dwordx4 v[86:87], v[0:3], off
	;; [unrolled: 1-line block ×5, first 2 shown]
.LBB0_16:
	s_or_b32 exec_lo, exec_lo, s6
	s_xor_b32 s1, s33, -1
	s_and_b32 s0, s0, vcc_lo
	s_and_b32 s0, s1, s0
	s_and_saveexec_b32 s1, s0
	s_cbranch_execz .LBB0_18
; %bb.17:
	v_mad_u64_u32 v[83:84], null, s8, v82, 0
	v_mad_u64_u32 v[85:86], null, s8, v80, 0
	;; [unrolled: 1-line block ×3, first 2 shown]
	s_lshl_b64 s[0:1], s[2:3], 4
	s_add_u32 s0, s4, s0
	s_addc_u32 s1, s5, s1
	v_mad_u64_u32 v[89:90], null, s9, v82, v[84:85]
	v_add_co_u32 v90, vcc_lo, s0, v66
	v_add_co_ci_u32_e32 v91, vcc_lo, s1, v67, vcc_lo
	v_mov_b32_e32 v66, v86
	v_mov_b32_e32 v67, v88
	;; [unrolled: 1-line block ×3, first 2 shown]
	v_add_co_u32 v64, vcc_lo, v90, v64
	v_add_co_ci_u32_e32 v65, vcc_lo, v91, v65, vcc_lo
	v_mad_u64_u32 v[88:89], null, s9, v80, v[66:67]
	v_mad_u64_u32 v[66:67], null, s9, v81, v[67:68]
	;; [unrolled: 1-line block ×3, first 2 shown]
	v_lshlrev_b64 v[82:83], 4, v[83:84]
	global_store_dwordx4 v[64:65], v[60:63], off
	v_mov_b32_e32 v86, v88
	v_mov_b32_e32 v88, v66
	;; [unrolled: 1-line block ×3, first 2 shown]
	v_add_co_u32 v61, vcc_lo, v90, v82
	v_lshlrev_b64 v[63:64], 4, v[85:86]
	v_add_co_ci_u32_e32 v62, vcc_lo, v91, v83, vcc_lo
	v_mad_u64_u32 v[81:82], null, s9, v79, v[60:61]
	v_mad_u64_u32 v[82:83], null, s8, v78, 0
	v_lshlrev_b64 v[65:66], 4, v[87:88]
	v_add_co_u32 v63, vcc_lo, v90, v63
	v_add_co_ci_u32_e32 v64, vcc_lo, v91, v64, vcc_lo
	global_store_dwordx4 v[61:62], v[56:59], off
	v_add_co_u32 v65, vcc_lo, v90, v65
	v_mov_b32_e32 v56, v83
	v_add_co_ci_u32_e32 v66, vcc_lo, v91, v66, vcc_lo
	global_store_dwordx4 v[63:64], v[48:51], off
	global_store_dwordx4 v[65:66], v[52:55], off
	v_lshlrev_b64 v[48:49], 4, v[80:81]
	v_mad_u64_u32 v[50:51], null, s9, v78, v[56:57]
	v_mad_u64_u32 v[51:52], null, s8, v76, 0
	v_mad_u64_u32 v[53:54], null, s8, v77, 0
	v_add_co_u32 v48, vcc_lo, v90, v48
	v_add_co_ci_u32_e32 v49, vcc_lo, v91, v49, vcc_lo
	v_mov_b32_e32 v83, v50
	v_mov_b32_e32 v50, v52
	v_mad_u64_u32 v[55:56], null, s8, v75, 0
	global_store_dwordx4 v[48:49], v[40:43], off
	v_lshlrev_b64 v[41:42], 4, v[82:83]
	v_mov_b32_e32 v40, v54
	v_mad_u64_u32 v[48:49], null, s9, v76, v[50:51]
	v_mad_u64_u32 v[57:58], null, s8, v74, 0
	;; [unrolled: 1-line block ×3, first 2 shown]
	v_add_co_u32 v41, vcc_lo, v90, v41
	v_mov_b32_e32 v40, v56
	v_add_co_ci_u32_e32 v42, vcc_lo, v91, v42, vcc_lo
	v_mov_b32_e32 v52, v48
	v_mov_b32_e32 v54, v49
	v_mad_u64_u32 v[48:49], null, s9, v75, v[40:41]
	global_store_dwordx4 v[41:42], v[44:47], off
	v_lshlrev_b64 v[41:42], 4, v[51:52]
	v_mov_b32_e32 v40, v58
	v_lshlrev_b64 v[43:44], 4, v[53:54]
	v_mov_b32_e32 v56, v48
	v_mad_u64_u32 v[45:46], null, s9, v74, v[40:41]
	v_mad_u64_u32 v[46:47], null, s8, v73, 0
	v_add_co_u32 v40, vcc_lo, v90, v41
	v_lshlrev_b64 v[48:49], 4, v[55:56]
	v_add_co_ci_u32_e32 v41, vcc_lo, v91, v42, vcc_lo
	v_mov_b32_e32 v58, v45
	v_mov_b32_e32 v42, v47
	v_add_co_u32 v43, vcc_lo, v90, v43
	v_add_co_ci_u32_e32 v44, vcc_lo, v91, v44, vcc_lo
	v_lshlrev_b64 v[50:51], 4, v[57:58]
	v_add_co_u32 v48, vcc_lo, v90, v48
	v_mad_u64_u32 v[52:53], null, s9, v73, v[42:43]
	v_add_co_ci_u32_e32 v49, vcc_lo, v91, v49, vcc_lo
	v_mad_u64_u32 v[53:54], null, s8, v72, 0
	v_add_co_u32 v50, vcc_lo, v90, v50
	v_add_co_ci_u32_e32 v51, vcc_lo, v91, v51, vcc_lo
	global_store_dwordx4 v[40:41], v[24:27], off
	global_store_dwordx4 v[43:44], v[28:31], off
	;; [unrolled: 1-line block ×4, first 2 shown]
	v_mad_u64_u32 v[27:28], null, s8, v70, 0
	v_mov_b32_e32 v47, v52
	v_mov_b32_e32 v26, v54
	v_mad_u64_u32 v[29:30], null, s8, v71, 0
	v_lshlrev_b64 v[24:25], 4, v[46:47]
	v_mad_u64_u32 v[31:32], null, s9, v72, v[26:27]
	v_mov_b32_e32 v26, v28
	v_mad_u64_u32 v[32:33], null, s8, v69, 0
	v_mov_b32_e32 v28, v30
	v_add_co_u32 v24, vcc_lo, v90, v24
	v_add_co_ci_u32_e32 v25, vcc_lo, v91, v25, vcc_lo
	v_mov_b32_e32 v54, v31
	v_mad_u64_u32 v[34:35], null, s9, v70, v[26:27]
	v_mad_u64_u32 v[35:36], null, s9, v71, v[28:29]
	v_mad_u64_u32 v[36:37], null, s8, v68, 0
	global_store_dwordx4 v[24:25], v[20:23], off
	v_lshlrev_b64 v[21:22], 4, v[53:54]
	v_mov_b32_e32 v20, v33
	v_mov_b32_e32 v28, v34
	;; [unrolled: 1-line block ×3, first 2 shown]
	v_mad_u64_u32 v[23:24], null, s9, v69, v[20:21]
	v_mov_b32_e32 v20, v37
	v_add_co_u32 v21, vcc_lo, v90, v21
	v_lshlrev_b64 v[24:25], 4, v[27:28]
	v_add_co_ci_u32_e32 v22, vcc_lo, v91, v22, vcc_lo
	v_mad_u64_u32 v[26:27], null, s9, v68, v[20:21]
	v_lshlrev_b64 v[27:28], 4, v[29:30]
	v_mov_b32_e32 v33, v23
	v_add_co_u32 v23, vcc_lo, v90, v24
	v_add_co_ci_u32_e32 v24, vcc_lo, v91, v25, vcc_lo
	v_mov_b32_e32 v37, v26
	v_lshlrev_b64 v[29:30], 4, v[32:33]
	v_add_co_u32 v25, vcc_lo, v90, v27
	v_add_co_ci_u32_e32 v26, vcc_lo, v91, v28, vcc_lo
	v_lshlrev_b64 v[27:28], 4, v[36:37]
	v_add_co_u32 v29, vcc_lo, v90, v29
	v_add_co_ci_u32_e32 v30, vcc_lo, v91, v30, vcc_lo
	v_add_co_u32 v27, vcc_lo, v90, v27
	v_add_co_ci_u32_e32 v28, vcc_lo, v91, v28, vcc_lo
	global_store_dwordx4 v[21:22], v[16:19], off
	global_store_dwordx4 v[23:24], v[0:3], off
	;; [unrolled: 1-line block ×5, first 2 shown]
.LBB0_18:
	s_endpgm
	.section	.rodata,"a",@progbits
	.p2align	6, 0x0
	.amdhsa_kernel fft_rtc_fwd_len208_factors_13_16_wgs_144_tpt_16_dp_ip_CI_sbcc_twdbase8_3step_dirReg_intrinsicRead
		.amdhsa_group_segment_fixed_size 0
		.amdhsa_private_segment_fixed_size 0
		.amdhsa_kernarg_size 96
		.amdhsa_user_sgpr_count 6
		.amdhsa_user_sgpr_private_segment_buffer 1
		.amdhsa_user_sgpr_dispatch_ptr 0
		.amdhsa_user_sgpr_queue_ptr 0
		.amdhsa_user_sgpr_kernarg_segment_ptr 1
		.amdhsa_user_sgpr_dispatch_id 0
		.amdhsa_user_sgpr_flat_scratch_init 0
		.amdhsa_user_sgpr_private_segment_size 0
		.amdhsa_wavefront_size32 1
		.amdhsa_uses_dynamic_stack 0
		.amdhsa_system_sgpr_private_segment_wavefront_offset 0
		.amdhsa_system_sgpr_workgroup_id_x 1
		.amdhsa_system_sgpr_workgroup_id_y 0
		.amdhsa_system_sgpr_workgroup_id_z 0
		.amdhsa_system_sgpr_workgroup_info 0
		.amdhsa_system_vgpr_workitem_id 0
		.amdhsa_next_free_vgpr 208
		.amdhsa_next_free_sgpr 46
		.amdhsa_reserve_vcc 1
		.amdhsa_reserve_flat_scratch 0
		.amdhsa_float_round_mode_32 0
		.amdhsa_float_round_mode_16_64 0
		.amdhsa_float_denorm_mode_32 3
		.amdhsa_float_denorm_mode_16_64 3
		.amdhsa_dx10_clamp 1
		.amdhsa_ieee_mode 1
		.amdhsa_fp16_overflow 0
		.amdhsa_workgroup_processor_mode 1
		.amdhsa_memory_ordered 1
		.amdhsa_forward_progress 0
		.amdhsa_shared_vgpr_count 0
		.amdhsa_exception_fp_ieee_invalid_op 0
		.amdhsa_exception_fp_denorm_src 0
		.amdhsa_exception_fp_ieee_div_zero 0
		.amdhsa_exception_fp_ieee_overflow 0
		.amdhsa_exception_fp_ieee_underflow 0
		.amdhsa_exception_fp_ieee_inexact 0
		.amdhsa_exception_int_div_zero 0
	.end_amdhsa_kernel
	.text
.Lfunc_end0:
	.size	fft_rtc_fwd_len208_factors_13_16_wgs_144_tpt_16_dp_ip_CI_sbcc_twdbase8_3step_dirReg_intrinsicRead, .Lfunc_end0-fft_rtc_fwd_len208_factors_13_16_wgs_144_tpt_16_dp_ip_CI_sbcc_twdbase8_3step_dirReg_intrinsicRead
                                        ; -- End function
	.section	.AMDGPU.csdata,"",@progbits
; Kernel info:
; codeLenInByte = 12904
; NumSgprs: 48
; NumVgprs: 208
; ScratchSize: 0
; MemoryBound: 0
; FloatMode: 240
; IeeeMode: 1
; LDSByteSize: 0 bytes/workgroup (compile time only)
; SGPRBlocks: 5
; VGPRBlocks: 25
; NumSGPRsForWavesPerEU: 48
; NumVGPRsForWavesPerEU: 208
; Occupancy: 4
; WaveLimiterHint : 1
; COMPUTE_PGM_RSRC2:SCRATCH_EN: 0
; COMPUTE_PGM_RSRC2:USER_SGPR: 6
; COMPUTE_PGM_RSRC2:TRAP_HANDLER: 0
; COMPUTE_PGM_RSRC2:TGID_X_EN: 1
; COMPUTE_PGM_RSRC2:TGID_Y_EN: 0
; COMPUTE_PGM_RSRC2:TGID_Z_EN: 0
; COMPUTE_PGM_RSRC2:TIDIG_COMP_CNT: 0
	.text
	.p2alignl 6, 3214868480
	.fill 48, 4, 3214868480
	.type	__hip_cuid_85dffa7b9a13b497,@object ; @__hip_cuid_85dffa7b9a13b497
	.section	.bss,"aw",@nobits
	.globl	__hip_cuid_85dffa7b9a13b497
__hip_cuid_85dffa7b9a13b497:
	.byte	0                               ; 0x0
	.size	__hip_cuid_85dffa7b9a13b497, 1

	.ident	"AMD clang version 19.0.0git (https://github.com/RadeonOpenCompute/llvm-project roc-6.4.0 25133 c7fe45cf4b819c5991fe208aaa96edf142730f1d)"
	.section	".note.GNU-stack","",@progbits
	.addrsig
	.addrsig_sym __hip_cuid_85dffa7b9a13b497
	.amdgpu_metadata
---
amdhsa.kernels:
  - .args:
      - .actual_access:  read_only
        .address_space:  global
        .offset:         0
        .size:           8
        .value_kind:     global_buffer
      - .address_space:  global
        .offset:         8
        .size:           8
        .value_kind:     global_buffer
      - .offset:         16
        .size:           8
        .value_kind:     by_value
      - .actual_access:  read_only
        .address_space:  global
        .offset:         24
        .size:           8
        .value_kind:     global_buffer
      - .actual_access:  read_only
        .address_space:  global
        .offset:         32
        .size:           8
        .value_kind:     global_buffer
      - .offset:         40
        .size:           8
        .value_kind:     by_value
      - .actual_access:  read_only
        .address_space:  global
        .offset:         48
        .size:           8
        .value_kind:     global_buffer
      - .actual_access:  read_only
        .address_space:  global
        .offset:         56
        .size:           8
        .value_kind:     global_buffer
      - .offset:         64
        .size:           4
        .value_kind:     by_value
      - .actual_access:  read_only
        .address_space:  global
        .offset:         72
        .size:           8
        .value_kind:     global_buffer
      - .actual_access:  read_only
        .address_space:  global
        .offset:         80
        .size:           8
        .value_kind:     global_buffer
      - .address_space:  global
        .offset:         88
        .size:           8
        .value_kind:     global_buffer
    .group_segment_fixed_size: 0
    .kernarg_segment_align: 8
    .kernarg_segment_size: 96
    .language:       OpenCL C
    .language_version:
      - 2
      - 0
    .max_flat_workgroup_size: 144
    .name:           fft_rtc_fwd_len208_factors_13_16_wgs_144_tpt_16_dp_ip_CI_sbcc_twdbase8_3step_dirReg_intrinsicRead
    .private_segment_fixed_size: 0
    .sgpr_count:     48
    .sgpr_spill_count: 0
    .symbol:         fft_rtc_fwd_len208_factors_13_16_wgs_144_tpt_16_dp_ip_CI_sbcc_twdbase8_3step_dirReg_intrinsicRead.kd
    .uniform_work_group_size: 1
    .uses_dynamic_stack: false
    .vgpr_count:     208
    .vgpr_spill_count: 0
    .wavefront_size: 32
    .workgroup_processor_mode: 1
amdhsa.target:   amdgcn-amd-amdhsa--gfx1030
amdhsa.version:
  - 1
  - 2
...

	.end_amdgpu_metadata
